;; amdgpu-corpus repo=ROCm/rocFFT kind=compiled arch=gfx950 opt=O3
	.text
	.amdgcn_target "amdgcn-amd-amdhsa--gfx950"
	.amdhsa_code_object_version 6
	.protected	fft_rtc_back_len2160_factors_10_6_6_6_wgs_60_tpt_60_halfLds_sp_ip_CI_unitstride_sbrr_C2R_dirReg ; -- Begin function fft_rtc_back_len2160_factors_10_6_6_6_wgs_60_tpt_60_halfLds_sp_ip_CI_unitstride_sbrr_C2R_dirReg
	.globl	fft_rtc_back_len2160_factors_10_6_6_6_wgs_60_tpt_60_halfLds_sp_ip_CI_unitstride_sbrr_C2R_dirReg
	.p2align	8
	.type	fft_rtc_back_len2160_factors_10_6_6_6_wgs_60_tpt_60_halfLds_sp_ip_CI_unitstride_sbrr_C2R_dirReg,@function
fft_rtc_back_len2160_factors_10_6_6_6_wgs_60_tpt_60_halfLds_sp_ip_CI_unitstride_sbrr_C2R_dirReg: ; @fft_rtc_back_len2160_factors_10_6_6_6_wgs_60_tpt_60_halfLds_sp_ip_CI_unitstride_sbrr_C2R_dirReg
; %bb.0:
	s_load_dwordx2 s[8:9], s[0:1], 0x50
	s_load_dwordx4 s[4:7], s[0:1], 0x0
	s_load_dwordx2 s[10:11], s[0:1], 0x18
	v_mul_u32_u24_e32 v1, 0x445, v0
	v_add_u32_sdwa v6, s2, v1 dst_sel:DWORD dst_unused:UNUSED_PAD src0_sel:DWORD src1_sel:WORD_1
	v_mov_b32_e32 v4, 0
	s_waitcnt lgkmcnt(0)
	v_cmp_lt_u64_e64 s[2:3], s[6:7], 2
	v_mov_b32_e32 v7, v4
	s_and_b64 vcc, exec, s[2:3]
	v_mov_b64_e32 v[2:3], 0
	s_cbranch_vccnz .LBB0_8
; %bb.1:
	s_load_dwordx2 s[2:3], s[0:1], 0x10
	s_add_u32 s12, s10, 8
	s_addc_u32 s13, s11, 0
	s_mov_b64 s[14:15], 1
	v_mov_b64_e32 v[2:3], 0
	s_waitcnt lgkmcnt(0)
	s_add_u32 s16, s2, 8
	s_addc_u32 s17, s3, 0
.LBB0_2:                                ; =>This Inner Loop Header: Depth=1
	s_load_dwordx2 s[18:19], s[16:17], 0x0
                                        ; implicit-def: $vgpr8_vgpr9
	s_waitcnt lgkmcnt(0)
	v_or_b32_e32 v5, s19, v7
	v_cmp_ne_u64_e32 vcc, 0, v[4:5]
	s_and_saveexec_b64 s[2:3], vcc
	s_xor_b64 s[20:21], exec, s[2:3]
	s_cbranch_execz .LBB0_4
; %bb.3:                                ;   in Loop: Header=BB0_2 Depth=1
	v_cvt_f32_u32_e32 v1, s18
	v_cvt_f32_u32_e32 v5, s19
	s_sub_u32 s2, 0, s18
	s_subb_u32 s3, 0, s19
	v_fmac_f32_e32 v1, 0x4f800000, v5
	v_rcp_f32_e32 v1, v1
	s_nop 0
	v_mul_f32_e32 v1, 0x5f7ffffc, v1
	v_mul_f32_e32 v5, 0x2f800000, v1
	v_trunc_f32_e32 v5, v5
	v_fmac_f32_e32 v1, 0xcf800000, v5
	v_cvt_u32_f32_e32 v5, v5
	v_cvt_u32_f32_e32 v1, v1
	v_mul_lo_u32 v8, s2, v5
	v_mul_hi_u32 v10, s2, v1
	v_mul_lo_u32 v9, s3, v1
	v_add_u32_e32 v10, v10, v8
	v_mul_lo_u32 v12, s2, v1
	v_add_u32_e32 v13, v10, v9
	v_mul_hi_u32 v8, v1, v12
	v_mul_hi_u32 v11, v1, v13
	v_mul_lo_u32 v10, v1, v13
	v_mov_b32_e32 v9, v4
	v_lshl_add_u64 v[8:9], v[8:9], 0, v[10:11]
	v_mul_hi_u32 v11, v5, v12
	v_mul_lo_u32 v12, v5, v12
	v_add_co_u32_e32 v8, vcc, v8, v12
	v_mul_hi_u32 v10, v5, v13
	s_nop 0
	v_addc_co_u32_e32 v8, vcc, v9, v11, vcc
	v_mov_b32_e32 v9, v4
	s_nop 0
	v_addc_co_u32_e32 v11, vcc, 0, v10, vcc
	v_mul_lo_u32 v10, v5, v13
	v_lshl_add_u64 v[8:9], v[8:9], 0, v[10:11]
	v_add_co_u32_e32 v1, vcc, v1, v8
	v_mul_lo_u32 v10, s2, v1
	s_nop 0
	v_addc_co_u32_e32 v5, vcc, v5, v9, vcc
	v_mul_lo_u32 v8, s2, v5
	v_mul_hi_u32 v9, s2, v1
	v_add_u32_e32 v8, v9, v8
	v_mul_lo_u32 v9, s3, v1
	v_add_u32_e32 v12, v8, v9
	v_mul_hi_u32 v14, v5, v10
	v_mul_lo_u32 v15, v5, v10
	v_mul_hi_u32 v9, v1, v12
	v_mul_lo_u32 v8, v1, v12
	v_mul_hi_u32 v10, v1, v10
	v_mov_b32_e32 v11, v4
	v_lshl_add_u64 v[8:9], v[10:11], 0, v[8:9]
	v_add_co_u32_e32 v8, vcc, v8, v15
	v_mul_hi_u32 v13, v5, v12
	s_nop 0
	v_addc_co_u32_e32 v8, vcc, v9, v14, vcc
	v_mul_lo_u32 v10, v5, v12
	s_nop 0
	v_addc_co_u32_e32 v11, vcc, 0, v13, vcc
	v_mov_b32_e32 v9, v4
	v_lshl_add_u64 v[8:9], v[8:9], 0, v[10:11]
	v_add_co_u32_e32 v1, vcc, v1, v8
	v_mul_hi_u32 v10, v6, v1
	s_nop 0
	v_addc_co_u32_e32 v5, vcc, v5, v9, vcc
	v_mad_u64_u32 v[8:9], s[2:3], v6, v5, 0
	v_mov_b32_e32 v11, v4
	v_lshl_add_u64 v[8:9], v[10:11], 0, v[8:9]
	v_mad_u64_u32 v[12:13], s[2:3], v7, v1, 0
	v_add_co_u32_e32 v1, vcc, v8, v12
	v_mad_u64_u32 v[10:11], s[2:3], v7, v5, 0
	s_nop 0
	v_addc_co_u32_e32 v8, vcc, v9, v13, vcc
	v_mov_b32_e32 v9, v4
	s_nop 0
	v_addc_co_u32_e32 v11, vcc, 0, v11, vcc
	v_lshl_add_u64 v[8:9], v[8:9], 0, v[10:11]
	v_mul_lo_u32 v1, s19, v8
	v_mul_lo_u32 v5, s18, v9
	v_mad_u64_u32 v[10:11], s[2:3], s18, v8, 0
	v_add3_u32 v1, v11, v5, v1
	v_sub_u32_e32 v5, v7, v1
	v_mov_b32_e32 v11, s19
	v_sub_co_u32_e32 v14, vcc, v6, v10
	v_lshl_add_u64 v[12:13], v[8:9], 0, 1
	s_nop 0
	v_subb_co_u32_e64 v5, s[2:3], v5, v11, vcc
	v_subrev_co_u32_e64 v10, s[2:3], s18, v14
	v_subb_co_u32_e32 v1, vcc, v7, v1, vcc
	s_nop 0
	v_subbrev_co_u32_e64 v5, s[2:3], 0, v5, s[2:3]
	v_cmp_le_u32_e64 s[2:3], s19, v5
	v_cmp_le_u32_e32 vcc, s19, v1
	s_nop 0
	v_cndmask_b32_e64 v11, 0, -1, s[2:3]
	v_cmp_le_u32_e64 s[2:3], s18, v10
	s_nop 1
	v_cndmask_b32_e64 v10, 0, -1, s[2:3]
	v_cmp_eq_u32_e64 s[2:3], s19, v5
	s_nop 1
	v_cndmask_b32_e64 v5, v11, v10, s[2:3]
	v_lshl_add_u64 v[10:11], v[8:9], 0, 2
	v_cmp_ne_u32_e64 s[2:3], 0, v5
	s_nop 1
	v_cndmask_b32_e64 v5, v13, v11, s[2:3]
	v_cndmask_b32_e64 v11, 0, -1, vcc
	v_cmp_le_u32_e32 vcc, s18, v14
	s_nop 1
	v_cndmask_b32_e64 v13, 0, -1, vcc
	v_cmp_eq_u32_e32 vcc, s19, v1
	s_nop 1
	v_cndmask_b32_e32 v1, v11, v13, vcc
	v_cmp_ne_u32_e32 vcc, 0, v1
	v_cndmask_b32_e64 v1, v12, v10, s[2:3]
	s_nop 0
	v_cndmask_b32_e32 v9, v9, v5, vcc
	v_cndmask_b32_e32 v8, v8, v1, vcc
.LBB0_4:                                ;   in Loop: Header=BB0_2 Depth=1
	s_andn2_saveexec_b64 s[2:3], s[20:21]
	s_cbranch_execz .LBB0_6
; %bb.5:                                ;   in Loop: Header=BB0_2 Depth=1
	v_cvt_f32_u32_e32 v1, s18
	s_sub_i32 s20, 0, s18
	v_rcp_iflag_f32_e32 v1, v1
	s_nop 0
	v_mul_f32_e32 v1, 0x4f7ffffe, v1
	v_cvt_u32_f32_e32 v1, v1
	v_mul_lo_u32 v5, s20, v1
	v_mul_hi_u32 v5, v1, v5
	v_add_u32_e32 v1, v1, v5
	v_mul_hi_u32 v1, v6, v1
	v_mul_lo_u32 v5, v1, s18
	v_sub_u32_e32 v5, v6, v5
	v_add_u32_e32 v8, 1, v1
	v_subrev_u32_e32 v9, s18, v5
	v_cmp_le_u32_e32 vcc, s18, v5
	s_nop 1
	v_cndmask_b32_e32 v5, v5, v9, vcc
	v_cndmask_b32_e32 v1, v1, v8, vcc
	v_add_u32_e32 v8, 1, v1
	v_cmp_le_u32_e32 vcc, s18, v5
	v_mov_b32_e32 v9, v4
	s_nop 0
	v_cndmask_b32_e32 v8, v1, v8, vcc
.LBB0_6:                                ;   in Loop: Header=BB0_2 Depth=1
	s_or_b64 exec, exec, s[2:3]
	v_mad_u64_u32 v[10:11], s[2:3], v8, s18, 0
	s_load_dwordx2 s[2:3], s[12:13], 0x0
	v_mul_lo_u32 v1, v9, s18
	v_mul_lo_u32 v5, v8, s19
	v_add3_u32 v1, v11, v5, v1
	v_sub_co_u32_e32 v5, vcc, v6, v10
	s_add_u32 s14, s14, 1
	s_nop 0
	v_subb_co_u32_e32 v1, vcc, v7, v1, vcc
	s_addc_u32 s15, s15, 0
	s_waitcnt lgkmcnt(0)
	v_mul_lo_u32 v1, s2, v1
	v_mul_lo_u32 v6, s3, v5
	v_mad_u64_u32 v[2:3], s[2:3], s2, v5, v[2:3]
	s_add_u32 s12, s12, 8
	v_add3_u32 v3, v6, v3, v1
	s_addc_u32 s13, s13, 0
	v_mov_b64_e32 v[6:7], s[6:7]
	s_add_u32 s16, s16, 8
	v_cmp_ge_u64_e32 vcc, s[14:15], v[6:7]
	s_addc_u32 s17, s17, 0
	s_cbranch_vccnz .LBB0_9
; %bb.7:                                ;   in Loop: Header=BB0_2 Depth=1
	v_mov_b64_e32 v[6:7], v[8:9]
	s_branch .LBB0_2
.LBB0_8:
	v_mov_b64_e32 v[8:9], v[6:7]
.LBB0_9:
	s_lshl_b64 s[2:3], s[6:7], 3
	s_add_u32 s2, s10, s2
	s_addc_u32 s3, s11, s3
	s_load_dwordx2 s[6:7], s[2:3], 0x0
	s_load_dwordx2 s[10:11], s[0:1], 0x20
	s_mov_b32 s2, 0x4444445
	s_waitcnt lgkmcnt(0)
	v_mul_lo_u32 v1, s6, v9
	v_mul_lo_u32 v4, s7, v8
	v_mad_u64_u32 v[2:3], s[0:1], s6, v8, v[2:3]
	v_add3_u32 v3, v4, v3, v1
	v_mul_hi_u32 v1, v0, s2
	v_mul_u32_u24_e32 v1, 60, v1
	v_cmp_gt_u64_e64 s[0:1], s[10:11], v[8:9]
	v_sub_u32_e32 v80, v0, v1
	v_lshl_add_u64 v[82:83], v[2:3], 3, s[8:9]
	s_and_saveexec_b64 s[2:3], s[0:1]
	s_cbranch_execz .LBB0_13
; %bb.10:
	v_mov_b32_e32 v81, 0
	v_lshl_add_u64 v[0:1], v[80:81], 3, v[82:83]
	s_movk_i32 s6, 0x1000
	v_add_co_u32_e32 v10, vcc, s6, v0
	s_movk_i32 s6, 0x2000
	s_nop 0
	v_addc_co_u32_e32 v11, vcc, 0, v1, vcc
	v_add_co_u32_e32 v32, vcc, s6, v0
	s_movk_i32 s7, 0x3000
	s_nop 0
	v_addc_co_u32_e32 v33, vcc, 0, v1, vcc
	v_add_co_u32_e32 v34, vcc, s7, v0
	global_load_dwordx2 v[2:3], v[0:1], off offset:1920
	global_load_dwordx2 v[4:5], v[0:1], off offset:2400
	;; [unrolled: 1-line block ×8, first 2 shown]
	v_or_b32_e32 v20, 0x3c0, v80
	v_or_b32_e32 v22, 0x780, v80
	v_mov_b32_e32 v21, v81
	v_mov_b32_e32 v23, v81
	global_load_dwordx2 v[24:25], v[0:1], off
	global_load_dwordx2 v[26:27], v[0:1], off offset:480
	global_load_dwordx2 v[28:29], v[0:1], off offset:960
	;; [unrolled: 1-line block ×3, first 2 shown]
	v_addc_co_u32_e32 v35, vcc, 0, v1, vcc
	v_lshl_add_u64 v[20:21], v[20:21], 3, v[82:83]
	v_lshl_add_u64 v[22:23], v[22:23], 3, v[82:83]
	v_add_co_u32_e32 v0, vcc, 0x4000, v0
	global_load_dwordx2 v[36:37], v[10:11], off offset:1664
	global_load_dwordx2 v[38:39], v[10:11], off offset:2144
	;; [unrolled: 1-line block ×6, first 2 shown]
	global_load_dwordx2 v[48:49], v[20:21], off
	global_load_dwordx2 v[50:51], v[10:11], off offset:4064
	global_load_dwordx2 v[52:53], v[32:33], off offset:1408
	;; [unrolled: 1-line block ×8, first 2 shown]
                                        ; kill: killed $vgpr32 killed $vgpr33
                                        ; kill: killed $vgpr10 killed $vgpr11
                                        ; kill: killed $vgpr20_vgpr21
	global_load_dwordx2 v[10:11], v[34:35], off offset:672
	global_load_dwordx2 v[20:21], v[34:35], off offset:1152
	s_nop 0
	global_load_dwordx2 v[32:33], v[34:35], off offset:1632
	global_load_dwordx2 v[66:67], v[34:35], off offset:2112
	;; [unrolled: 1-line block ×4, first 2 shown]
	v_addc_co_u32_e32 v1, vcc, 0, v1, vcc
	global_load_dwordx2 v[72:73], v[22:23], off
	global_load_dwordx2 v[74:75], v[0:1], off offset:416
	global_load_dwordx2 v[76:77], v[34:35], off offset:4032
	v_lshl_add_u32 v0, v80, 3, 0
	v_add_u32_e32 v1, 0x400, v0
	v_add_u32_e32 v22, 0x800, v0
	;; [unrolled: 1-line block ×8, first 2 shown]
	v_cmp_eq_u32_e32 vcc, 59, v80
	s_waitcnt vmcnt(26)
	ds_write2_b64 v0, v[24:25], v[26:27] offset1:60
	ds_write2_b64 v1, v[2:3], v[4:5] offset0:112 offset1:172
	ds_write2_b64 v22, v[6:7], v[8:9] offset0:104 offset1:164
	s_waitcnt vmcnt(24)
	ds_write2_b64 v0, v[28:29], v[30:31] offset0:120 offset1:180
	ds_write2_b64 v23, v[12:13], v[14:15] offset0:96 offset1:156
	ds_write2_b64 v34, v[16:17], v[18:19] offset0:88 offset1:148
	s_waitcnt vmcnt(22)
	ds_write2_b64 v35, v[36:37], v[38:39] offset0:80 offset1:140
	s_waitcnt vmcnt(20)
	ds_write2_b64 v78, v[40:41], v[42:43] offset0:72 offset1:132
	;; [unrolled: 2-line block ×3, first 2 shown]
	ds_write2_b64 v79, v[46:47], v[44:45] offset0:56 offset1:116
	s_waitcnt vmcnt(14)
	ds_write2_b64 v79, v[52:53], v[54:55] offset0:176 offset1:236
	s_waitcnt vmcnt(12)
	;; [unrolled: 2-line block ×3, first 2 shown]
	ds_write2_b64 v84, v[60:61], v[62:63] offset0:160 offset1:220
	v_add_u32_e32 v1, 0x3000, v0
	s_waitcnt vmcnt(8)
	ds_write2_b64 v1, v[64:65], v[10:11] offset0:24 offset1:84
	s_waitcnt vmcnt(6)
	ds_write2_b64 v1, v[20:21], v[32:33] offset0:144 offset1:204
	v_add_u32_e32 v1, 0x3800, v0
	v_add_u32_e32 v0, 0x3c00, v0
	s_waitcnt vmcnt(4)
	ds_write2_b64 v1, v[66:67], v[68:69] offset0:8 offset1:68
	s_waitcnt vmcnt(2)
	ds_write2_b64 v1, v[72:73], v[70:71] offset0:128 offset1:188
	;; [unrolled: 2-line block ×3, first 2 shown]
	s_and_saveexec_b64 s[6:7], vcc
	s_cbranch_execz .LBB0_12
; %bb.11:
	v_add_co_u32_e32 v0, vcc, 0x4000, v82
	v_mov_b32_e32 v80, 59
	s_nop 0
	v_addc_co_u32_e32 v1, vcc, 0, v83, vcc
	global_load_dwordx2 v[0:1], v[0:1], off offset:896
	s_waitcnt vmcnt(0)
	ds_write_b64 v81, v[0:1] offset:17280
.LBB0_12:
	s_or_b64 exec, exec, s[6:7]
.LBB0_13:
	s_or_b64 exec, exec, s[2:3]
	v_lshlrev_b32_e32 v0, 3, v80
	v_add_u32_e32 v100, 0, v0
	s_waitcnt lgkmcnt(0)
	; wave barrier
	s_waitcnt lgkmcnt(0)
	v_sub_u32_e32 v4, 0, v0
	ds_read_b32 v0, v100
	ds_read_b32 v1, v4 offset:17280
	s_add_u32 s2, s4, 0x4330
	s_addc_u32 s3, s5, 0
	v_cmp_ne_u32_e32 vcc, 0, v80
	s_waitcnt lgkmcnt(0)
	v_add_f32_e32 v2, v1, v0
	v_sub_f32_e32 v3, v0, v1
                                        ; implicit-def: $vgpr0_vgpr1
	s_and_saveexec_b64 s[6:7], vcc
	s_xor_b64 s[6:7], exec, s[6:7]
	s_cbranch_execz .LBB0_15
; %bb.14:
	v_mov_b32_e32 v81, 0
	v_lshl_add_u64 v[0:1], v[80:81], 3, s[2:3]
	global_load_dwordx2 v[6:7], v[0:1], off
	ds_read_b32 v5, v4 offset:17284
	ds_read_b32 v11, v100 offset:4
	v_mov_b32_e32 v8, v3
	v_mov_b32_e32 v10, v2
	;; [unrolled: 1-line block ×3, first 2 shown]
	v_mov_b64_e32 v[0:1], v[80:81]
	s_waitcnt lgkmcnt(0)
	v_add_f32_e32 v9, v5, v11
	v_sub_f32_e32 v11, v11, v5
	v_mov_b32_e32 v12, v9
	s_waitcnt vmcnt(0)
	v_pk_mul_f32 v[14:15], v[8:9], v[6:7] op_sel:[0,1]
	v_pk_fma_f32 v[8:9], v[8:9], v[6:7], v[10:11] op_sel:[0,1,0]
	v_mov_b32_e32 v3, v15
	v_mov_b32_e32 v15, v11
	v_pk_fma_f32 v[16:17], v[6:7], v[12:13], v[8:9] neg_lo:[1,0,0] neg_hi:[1,0,0]
	v_pk_fma_f32 v[8:9], v[6:7], v[12:13], v[8:9] op_sel_hi:[0,1,1]
	v_pk_add_f32 v[2:3], v[2:3], v[14:15] neg_lo:[0,1] neg_hi:[0,1]
	v_mov_b32_e32 v17, v9
	v_pk_fma_f32 v[2:3], v[6:7], v[12:13], v[2:3] op_sel_hi:[0,1,1]
	ds_write_b64 v4, v[2:3] offset:17280
	v_mov_b64_e32 v[2:3], v[16:17]
.LBB0_15:
	s_andn2_saveexec_b64 s[6:7], s[6:7]
	s_cbranch_execz .LBB0_17
; %bb.16:
	v_mov_b32_e32 v5, 0
	ds_read_b64 v[0:1], v5 offset:8640
	s_mov_b32 s8, 2.0
	s_mov_b32 s9, -2.0
	s_waitcnt lgkmcnt(0)
	v_pk_mul_f32 v[0:1], v[0:1], s[8:9]
	ds_write_b64 v5, v[0:1] offset:8640
	v_mov_b64_e32 v[0:1], 0
.LBB0_17:
	s_or_b64 exec, exec, s[6:7]
	v_lshl_add_u64 v[0:1], v[0:1], 3, s[2:3]
	global_load_dwordx2 v[6:7], v[0:1], off offset:480
	global_load_dwordx2 v[8:9], v[0:1], off offset:960
	;; [unrolled: 1-line block ×3, first 2 shown]
	v_add_u32_e32 v86, 0xf0, v80
	v_mov_b32_e32 v87, 0
	v_lshl_add_u64 v[12:13], v[86:87], 3, s[2:3]
	global_load_dwordx2 v[12:13], v[12:13], off
	v_add_u32_e32 v84, 0x12c, v80
	v_mov_b32_e32 v85, v87
	ds_write_b64 v100, v[2:3]
	v_lshl_add_u64 v[18:19], v[84:85], 3, s[2:3]
	ds_read_b64 v[2:3], v100 offset:480
	ds_read_b64 v[14:15], v4 offset:16800
	global_load_dwordx2 v[16:17], v[0:1], off offset:2880
	v_lshl_add_u32 v81, v86, 3, 0
	global_load_dwordx2 v[18:19], v[18:19], off
	s_movk_i32 s13, 0x1000
	s_waitcnt lgkmcnt(0)
	v_pk_add_f32 v[20:21], v[2:3], v[14:15]
	v_pk_add_f32 v[2:3], v[2:3], v[14:15] neg_lo:[0,1] neg_hi:[0,1]
	v_mov_b32_e32 v14, v21
	v_mov_b32_e32 v15, v2
	;; [unrolled: 1-line block ×3, first 2 shown]
	v_lshl_add_u32 v85, v84, 3, 0
	v_add_u32_e32 v105, 0x800, v100
	v_add_u32_e32 v107, 0x1000, v100
	;; [unrolled: 1-line block ×7, first 2 shown]
	s_mov_b32 s9, 0x3f737871
	s_mov_b32 s6, 0x3e9e377a
	v_add_u32_e32 v108, 0x400, v100
	s_mov_b32 s7, 0x3f167918
	s_mov_b32 s10, s7
	;; [unrolled: 1-line block ×12, first 2 shown]
	s_waitcnt vmcnt(5)
	v_pk_mul_f32 v[22:23], v[14:15], v[6:7] op_sel:[0,1]
	s_nop 0
	v_pk_add_f32 v[24:25], v[20:21], v[22:23] op_sel:[0,1] op_sel_hi:[1,0]
	v_mov_b32_e32 v21, v22
	v_mov_b32_e32 v2, v23
	v_pk_fma_f32 v[22:23], v[6:7], v[14:15], v[24:25] neg_lo:[1,0,0] neg_hi:[1,0,0]
	v_pk_fma_f32 v[24:25], v[6:7], v[14:15], v[24:25] op_sel_hi:[0,1,1]
	v_pk_add_f32 v[2:3], v[20:21], v[2:3] neg_lo:[0,1] neg_hi:[0,1]
	v_mov_b32_e32 v23, v25
	v_pk_fma_f32 v[2:3], v[6:7], v[14:15], v[2:3] op_sel_hi:[0,1,1]
	ds_write_b64 v100, v[22:23] offset:480
	ds_write_b64 v4, v[2:3] offset:16800
	ds_read_b64 v[2:3], v4 offset:16320
	ds_read_b64 v[6:7], v100 offset:960
	s_waitcnt lgkmcnt(0)
	v_pk_add_f32 v[14:15], v[6:7], v[2:3]
	v_pk_add_f32 v[2:3], v[6:7], v[2:3] neg_lo:[0,1] neg_hi:[0,1]
	v_mov_b32_e32 v6, v15
	v_mov_b32_e32 v7, v2
	;; [unrolled: 1-line block ×3, first 2 shown]
	s_waitcnt vmcnt(4)
	v_pk_mul_f32 v[20:21], v[6:7], v[8:9] op_sel:[0,1]
	s_nop 0
	v_pk_add_f32 v[22:23], v[14:15], v[20:21] op_sel:[0,1] op_sel_hi:[1,0]
	v_mov_b32_e32 v15, v20
	v_mov_b32_e32 v2, v21
	v_pk_fma_f32 v[20:21], v[8:9], v[6:7], v[22:23] neg_lo:[1,0,0] neg_hi:[1,0,0]
	v_pk_fma_f32 v[22:23], v[8:9], v[6:7], v[22:23] op_sel_hi:[0,1,1]
	v_pk_add_f32 v[2:3], v[14:15], v[2:3] neg_lo:[0,1] neg_hi:[0,1]
	v_mov_b32_e32 v21, v23
	v_pk_fma_f32 v[2:3], v[8:9], v[6:7], v[2:3] op_sel_hi:[0,1,1]
	ds_write_b64 v100, v[20:21] offset:960
	ds_write_b64 v4, v[2:3] offset:16320
	ds_read_b64 v[2:3], v4 offset:15840
	ds_read_b64 v[6:7], v100 offset:1440
	global_load_dwordx2 v[8:9], v[0:1], off offset:3360
	s_waitcnt lgkmcnt(0)
	v_pk_add_f32 v[14:15], v[6:7], v[2:3]
	v_pk_add_f32 v[2:3], v[6:7], v[2:3] neg_lo:[0,1] neg_hi:[0,1]
	v_mov_b32_e32 v6, v15
	v_mov_b32_e32 v7, v2
	;; [unrolled: 1-line block ×3, first 2 shown]
	s_waitcnt vmcnt(4)
	v_pk_mul_f32 v[20:21], v[6:7], v[10:11] op_sel:[0,1]
	s_nop 0
	v_pk_add_f32 v[22:23], v[14:15], v[20:21] op_sel:[0,1] op_sel_hi:[1,0]
	v_mov_b32_e32 v15, v20
	v_mov_b32_e32 v2, v21
	v_pk_fma_f32 v[20:21], v[10:11], v[6:7], v[22:23] neg_lo:[1,0,0] neg_hi:[1,0,0]
	v_pk_fma_f32 v[22:23], v[10:11], v[6:7], v[22:23] op_sel_hi:[0,1,1]
	v_pk_add_f32 v[2:3], v[14:15], v[2:3] neg_lo:[0,1] neg_hi:[0,1]
	v_mov_b32_e32 v21, v23
	v_pk_fma_f32 v[2:3], v[10:11], v[6:7], v[2:3] op_sel_hi:[0,1,1]
	ds_write_b64 v100, v[20:21] offset:1440
	ds_write_b64 v4, v[2:3] offset:15840
	ds_read_b64 v[2:3], v4 offset:15360
	ds_read_b64 v[6:7], v81
	global_load_dwordx2 v[10:11], v[0:1], off offset:3840
	v_add_co_u32_e32 v0, vcc, s13, v0
	s_waitcnt lgkmcnt(0)
	v_pk_add_f32 v[14:15], v[6:7], v[2:3]
	v_pk_add_f32 v[2:3], v[6:7], v[2:3] neg_lo:[0,1] neg_hi:[0,1]
	v_mov_b32_e32 v6, v15
	v_mov_b32_e32 v7, v2
	;; [unrolled: 1-line block ×3, first 2 shown]
	s_waitcnt vmcnt(4)
	v_pk_mul_f32 v[20:21], v[6:7], v[12:13] op_sel:[0,1]
	v_addc_co_u32_e32 v1, vcc, 0, v1, vcc
	v_pk_add_f32 v[22:23], v[14:15], v[20:21] op_sel:[0,1] op_sel_hi:[1,0]
	v_mov_b32_e32 v15, v20
	v_mov_b32_e32 v2, v21
	v_pk_fma_f32 v[20:21], v[12:13], v[6:7], v[22:23] neg_lo:[1,0,0] neg_hi:[1,0,0]
	v_pk_fma_f32 v[22:23], v[12:13], v[6:7], v[22:23] op_sel_hi:[0,1,1]
	v_pk_add_f32 v[2:3], v[14:15], v[2:3] neg_lo:[0,1] neg_hi:[0,1]
	v_mov_b32_e32 v21, v23
	v_pk_fma_f32 v[2:3], v[12:13], v[6:7], v[2:3] op_sel_hi:[0,1,1]
	ds_write_b64 v81, v[20:21]
	ds_write_b64 v4, v[2:3] offset:15360
	ds_read_b64 v[2:3], v4 offset:14880
	ds_read_b64 v[6:7], v85
	global_load_dwordx2 v[12:13], v[0:1], off offset:224
	v_cmp_gt_u32_e32 vcc, 36, v80
	s_waitcnt lgkmcnt(0)
	v_pk_add_f32 v[14:15], v[6:7], v[2:3]
	v_pk_add_f32 v[2:3], v[6:7], v[2:3] neg_lo:[0,1] neg_hi:[0,1]
	v_mov_b32_e32 v6, v15
	v_mov_b32_e32 v7, v2
	;; [unrolled: 1-line block ×3, first 2 shown]
	s_waitcnt vmcnt(3)
	v_pk_mul_f32 v[20:21], v[6:7], v[18:19] op_sel:[0,1]
	s_nop 0
	v_pk_add_f32 v[22:23], v[14:15], v[20:21] op_sel:[0,1] op_sel_hi:[1,0]
	v_mov_b32_e32 v15, v20
	v_mov_b32_e32 v2, v21
	v_pk_fma_f32 v[20:21], v[18:19], v[6:7], v[22:23] neg_lo:[1,0,0] neg_hi:[1,0,0]
	v_pk_fma_f32 v[22:23], v[18:19], v[6:7], v[22:23] op_sel_hi:[0,1,1]
	v_pk_add_f32 v[2:3], v[14:15], v[2:3] neg_lo:[0,1] neg_hi:[0,1]
	v_mov_b32_e32 v21, v23
	v_pk_fma_f32 v[2:3], v[18:19], v[6:7], v[2:3] op_sel_hi:[0,1,1]
	ds_write_b64 v85, v[20:21]
	ds_write_b64 v4, v[2:3] offset:14880
	ds_read_b64 v[2:3], v4 offset:14400
	ds_read_b64 v[6:7], v100 offset:2880
	global_load_dwordx2 v[14:15], v[0:1], off offset:704
	s_waitcnt lgkmcnt(0)
	v_pk_add_f32 v[18:19], v[6:7], v[2:3]
	v_pk_add_f32 v[2:3], v[6:7], v[2:3] neg_lo:[0,1] neg_hi:[0,1]
	v_mov_b32_e32 v6, v19
	v_mov_b32_e32 v7, v2
	;; [unrolled: 1-line block ×3, first 2 shown]
	v_pk_mul_f32 v[20:21], v[6:7], v[16:17] op_sel:[0,1]
	s_nop 0
	v_pk_add_f32 v[22:23], v[18:19], v[20:21] op_sel:[0,1] op_sel_hi:[1,0]
	v_mov_b32_e32 v19, v20
	v_mov_b32_e32 v2, v21
	v_pk_fma_f32 v[20:21], v[16:17], v[6:7], v[22:23] neg_lo:[1,0,0] neg_hi:[1,0,0]
	v_pk_fma_f32 v[22:23], v[16:17], v[6:7], v[22:23] op_sel_hi:[0,1,1]
	v_pk_add_f32 v[2:3], v[18:19], v[2:3] neg_lo:[0,1] neg_hi:[0,1]
	v_mov_b32_e32 v21, v23
	v_pk_fma_f32 v[2:3], v[16:17], v[6:7], v[2:3] op_sel_hi:[0,1,1]
	ds_write_b64 v100, v[20:21] offset:2880
	ds_write_b64 v4, v[2:3] offset:14400
	ds_read_b64 v[2:3], v4 offset:13920
	ds_read_b64 v[6:7], v100 offset:3360
	global_load_dwordx2 v[16:17], v[0:1], off offset:1184
	s_waitcnt lgkmcnt(0)
	v_pk_add_f32 v[18:19], v[6:7], v[2:3]
	v_pk_add_f32 v[2:3], v[6:7], v[2:3] neg_lo:[0,1] neg_hi:[0,1]
	v_mov_b32_e32 v6, v19
	v_mov_b32_e32 v7, v2
	;; [unrolled: 1-line block ×3, first 2 shown]
	s_waitcnt vmcnt(4)
	v_pk_mul_f32 v[20:21], v[6:7], v[8:9] op_sel:[0,1]
	s_nop 0
	v_pk_add_f32 v[22:23], v[18:19], v[20:21] op_sel:[0,1] op_sel_hi:[1,0]
	v_mov_b32_e32 v19, v20
	v_mov_b32_e32 v2, v21
	v_pk_fma_f32 v[20:21], v[8:9], v[6:7], v[22:23] neg_lo:[1,0,0] neg_hi:[1,0,0]
	v_pk_fma_f32 v[22:23], v[8:9], v[6:7], v[22:23] op_sel_hi:[0,1,1]
	v_pk_add_f32 v[2:3], v[18:19], v[2:3] neg_lo:[0,1] neg_hi:[0,1]
	v_mov_b32_e32 v21, v23
	v_pk_fma_f32 v[2:3], v[8:9], v[6:7], v[2:3] op_sel_hi:[0,1,1]
	ds_write_b64 v100, v[20:21] offset:3360
	ds_write_b64 v4, v[2:3] offset:13920
	ds_read_b64 v[2:3], v4 offset:13440
	ds_read_b64 v[6:7], v100 offset:3840
	global_load_dwordx2 v[8:9], v[0:1], off offset:1664
	s_waitcnt lgkmcnt(0)
	v_pk_add_f32 v[18:19], v[6:7], v[2:3]
	v_pk_add_f32 v[2:3], v[6:7], v[2:3] neg_lo:[0,1] neg_hi:[0,1]
	v_mov_b32_e32 v6, v19
	v_mov_b32_e32 v7, v2
	;; [unrolled: 1-line block ×3, first 2 shown]
	s_waitcnt vmcnt(4)
	v_pk_mul_f32 v[20:21], v[6:7], v[10:11] op_sel:[0,1]
	s_nop 0
	v_pk_add_f32 v[22:23], v[18:19], v[20:21] op_sel:[0,1] op_sel_hi:[1,0]
	v_mov_b32_e32 v19, v20
	v_mov_b32_e32 v2, v21
	v_pk_fma_f32 v[20:21], v[10:11], v[6:7], v[22:23] neg_lo:[1,0,0] neg_hi:[1,0,0]
	v_pk_fma_f32 v[22:23], v[10:11], v[6:7], v[22:23] op_sel_hi:[0,1,1]
	v_pk_add_f32 v[2:3], v[18:19], v[2:3] neg_lo:[0,1] neg_hi:[0,1]
	v_mov_b32_e32 v21, v23
	v_pk_fma_f32 v[2:3], v[10:11], v[6:7], v[2:3] op_sel_hi:[0,1,1]
	ds_write_b64 v100, v[20:21] offset:3840
	ds_write_b64 v4, v[2:3] offset:13440
	ds_read_b64 v[2:3], v4 offset:12960
	ds_read_b64 v[6:7], v100 offset:4320
	s_waitcnt lgkmcnt(0)
	v_pk_add_f32 v[10:11], v[6:7], v[2:3]
	v_pk_add_f32 v[2:3], v[6:7], v[2:3] neg_lo:[0,1] neg_hi:[0,1]
	v_mov_b32_e32 v6, v11
	v_mov_b32_e32 v7, v2
	v_mov_b32_e32 v11, v3
	s_waitcnt vmcnt(3)
	v_pk_mul_f32 v[18:19], v[6:7], v[12:13] op_sel:[0,1]
	s_nop 0
	v_pk_add_f32 v[20:21], v[10:11], v[18:19] op_sel:[0,1] op_sel_hi:[1,0]
	v_mov_b32_e32 v11, v18
	v_mov_b32_e32 v2, v19
	v_pk_fma_f32 v[22:23], v[12:13], v[6:7], v[20:21] neg_lo:[1,0,0] neg_hi:[1,0,0]
	v_pk_fma_f32 v[20:21], v[12:13], v[6:7], v[20:21] op_sel_hi:[0,1,1]
	v_pk_add_f32 v[2:3], v[10:11], v[2:3] neg_lo:[0,1] neg_hi:[0,1]
	v_mov_b32_e32 v23, v21
	v_pk_fma_f32 v[2:3], v[12:13], v[6:7], v[2:3] op_sel_hi:[0,1,1]
	ds_write_b64 v100, v[22:23] offset:4320
	ds_write_b64 v4, v[2:3] offset:12960
	ds_read_b64 v[2:3], v4 offset:12480
	ds_read_b64 v[6:7], v100 offset:4800
	global_load_dwordx2 v[10:11], v[0:1], off offset:2144
	s_waitcnt lgkmcnt(0)
	v_pk_add_f32 v[12:13], v[6:7], v[2:3]
	v_pk_add_f32 v[2:3], v[6:7], v[2:3] neg_lo:[0,1] neg_hi:[0,1]
	v_mov_b32_e32 v6, v13
	v_mov_b32_e32 v7, v2
	v_mov_b32_e32 v13, v3
	s_waitcnt vmcnt(3)
	v_pk_mul_f32 v[18:19], v[6:7], v[14:15] op_sel:[0,1]
	s_nop 0
	v_pk_add_f32 v[20:21], v[12:13], v[18:19] op_sel:[0,1] op_sel_hi:[1,0]
	v_mov_b32_e32 v13, v18
	v_mov_b32_e32 v2, v19
	v_pk_fma_f32 v[22:23], v[14:15], v[6:7], v[20:21] neg_lo:[1,0,0] neg_hi:[1,0,0]
	v_pk_fma_f32 v[20:21], v[14:15], v[6:7], v[20:21] op_sel_hi:[0,1,1]
	v_pk_add_f32 v[2:3], v[12:13], v[2:3] neg_lo:[0,1] neg_hi:[0,1]
	v_mov_b32_e32 v23, v21
	v_pk_fma_f32 v[2:3], v[14:15], v[6:7], v[2:3] op_sel_hi:[0,1,1]
	ds_write_b64 v100, v[22:23] offset:4800
	ds_write_b64 v4, v[2:3] offset:12480
	ds_read_b64 v[2:3], v4 offset:12000
	ds_read_b64 v[6:7], v100 offset:5280
	global_load_dwordx2 v[12:13], v[0:1], off offset:2624
	;; [unrolled: 22-line block ×3, first 2 shown]
	s_waitcnt lgkmcnt(0)
	v_pk_add_f32 v[16:17], v[6:7], v[2:3]
	v_pk_add_f32 v[2:3], v[6:7], v[2:3] neg_lo:[0,1] neg_hi:[0,1]
	v_mov_b32_e32 v6, v17
	v_mov_b32_e32 v7, v2
	;; [unrolled: 1-line block ×3, first 2 shown]
	s_waitcnt vmcnt(3)
	v_pk_mul_f32 v[18:19], v[6:7], v[8:9] op_sel:[0,1]
	s_nop 0
	v_pk_add_f32 v[20:21], v[16:17], v[18:19] op_sel:[0,1] op_sel_hi:[1,0]
	v_mov_b32_e32 v17, v18
	v_mov_b32_e32 v2, v19
	v_pk_add_f32 v[2:3], v[16:17], v[2:3] neg_lo:[0,1] neg_hi:[0,1]
	v_pk_fma_f32 v[22:23], v[8:9], v[6:7], v[20:21] neg_lo:[1,0,0] neg_hi:[1,0,0]
	v_pk_fma_f32 v[20:21], v[8:9], v[6:7], v[20:21] op_sel_hi:[0,1,1]
	v_pk_fma_f32 v[2:3], v[8:9], v[6:7], v[2:3] op_sel_hi:[0,1,1]
	v_or_b32_e32 v6, 0x3c0, v80
	v_mov_b32_e32 v7, v87
	v_lshl_add_u64 v[6:7], v[6:7], 3, s[2:3]
	global_load_dwordx2 v[6:7], v[6:7], off
	v_mov_b32_e32 v23, v21
	ds_write_b64 v100, v[22:23] offset:5760
	ds_write_b64 v4, v[2:3] offset:11520
	ds_read_b64 v[2:3], v4 offset:11040
	ds_read_b64 v[8:9], v100 offset:6240
	global_load_dwordx2 v[0:1], v[0:1], off offset:4064
	s_mov_b32 s2, s9
	s_waitcnt lgkmcnt(0)
	v_pk_add_f32 v[16:17], v[8:9], v[2:3]
	v_pk_add_f32 v[2:3], v[8:9], v[2:3] neg_lo:[0,1] neg_hi:[0,1]
	v_mov_b32_e32 v8, v17
	v_mov_b32_e32 v9, v2
	v_mov_b32_e32 v17, v3
	s_waitcnt vmcnt(4)
	v_pk_mul_f32 v[18:19], v[8:9], v[10:11] op_sel:[0,1]
	s_nop 0
	v_pk_add_f32 v[20:21], v[16:17], v[18:19] op_sel:[0,1] op_sel_hi:[1,0]
	v_mov_b32_e32 v17, v18
	v_mov_b32_e32 v2, v19
	v_pk_fma_f32 v[22:23], v[10:11], v[8:9], v[20:21] neg_lo:[1,0,0] neg_hi:[1,0,0]
	v_pk_fma_f32 v[20:21], v[10:11], v[8:9], v[20:21] op_sel_hi:[0,1,1]
	v_pk_add_f32 v[2:3], v[16:17], v[2:3] neg_lo:[0,1] neg_hi:[0,1]
	v_mov_b32_e32 v23, v21
	v_pk_fma_f32 v[2:3], v[10:11], v[8:9], v[2:3] op_sel_hi:[0,1,1]
	ds_write_b64 v100, v[22:23] offset:6240
	ds_write_b64 v4, v[2:3] offset:11040
	ds_read_b64 v[2:3], v4 offset:10560
	ds_read_b64 v[8:9], v100 offset:6720
	s_waitcnt lgkmcnt(0)
	v_pk_add_f32 v[10:11], v[8:9], v[2:3]
	v_pk_add_f32 v[2:3], v[8:9], v[2:3] neg_lo:[0,1] neg_hi:[0,1]
	v_mov_b32_e32 v8, v11
	v_mov_b32_e32 v9, v2
	v_mov_b32_e32 v11, v3
	s_waitcnt vmcnt(3)
	v_pk_mul_f32 v[16:17], v[8:9], v[12:13] op_sel:[0,1]
	s_nop 0
	v_pk_add_f32 v[18:19], v[10:11], v[16:17] op_sel:[0,1] op_sel_hi:[1,0]
	v_mov_b32_e32 v11, v16
	v_mov_b32_e32 v2, v17
	v_pk_fma_f32 v[20:21], v[12:13], v[8:9], v[18:19] neg_lo:[1,0,0] neg_hi:[1,0,0]
	v_pk_fma_f32 v[18:19], v[12:13], v[8:9], v[18:19] op_sel_hi:[0,1,1]
	v_pk_add_f32 v[2:3], v[10:11], v[2:3] neg_lo:[0,1] neg_hi:[0,1]
	v_mov_b32_e32 v21, v19
	v_pk_fma_f32 v[2:3], v[12:13], v[8:9], v[2:3] op_sel_hi:[0,1,1]
	ds_write_b64 v100, v[20:21] offset:6720
	ds_write_b64 v4, v[2:3] offset:10560
	ds_read_b64 v[2:3], v4 offset:10080
	ds_read_b64 v[8:9], v100 offset:7200
	;; [unrolled: 21-line block ×4, first 2 shown]
	s_waitcnt lgkmcnt(0)
	v_pk_add_f32 v[8:9], v[6:7], v[2:3]
	v_pk_add_f32 v[2:3], v[6:7], v[2:3] neg_lo:[0,1] neg_hi:[0,1]
	v_mov_b32_e32 v6, v9
	v_mov_b32_e32 v7, v2
	;; [unrolled: 1-line block ×3, first 2 shown]
	s_waitcnt vmcnt(0)
	v_pk_mul_f32 v[10:11], v[6:7], v[0:1] op_sel:[0,1]
	s_nop 0
	v_pk_add_f32 v[12:13], v[8:9], v[10:11] op_sel:[0,1] op_sel_hi:[1,0]
	v_mov_b32_e32 v9, v10
	v_mov_b32_e32 v2, v11
	v_pk_fma_f32 v[14:15], v[0:1], v[6:7], v[12:13] neg_lo:[1,0,0] neg_hi:[1,0,0]
	v_pk_fma_f32 v[12:13], v[0:1], v[6:7], v[12:13] op_sel_hi:[0,1,1]
	v_pk_add_f32 v[2:3], v[8:9], v[2:3] neg_lo:[0,1] neg_hi:[0,1]
	v_mov_b32_e32 v15, v13
	v_pk_fma_f32 v[0:1], v[0:1], v[6:7], v[2:3] op_sel_hi:[0,1,1]
	v_add_u32_e32 v12, 0x2c00, v100
	ds_write_b64 v100, v[14:15] offset:8160
	ds_write_b64 v4, v[0:1] offset:9120
	s_waitcnt lgkmcnt(0)
	; wave barrier
	s_waitcnt lgkmcnt(0)
	s_waitcnt lgkmcnt(0)
	; wave barrier
	s_waitcnt lgkmcnt(0)
	ds_read2_b64 v[0:3], v100 offset1:60
	ds_read2_b64 v[16:19], v105 offset0:176 offset1:236
	ds_read2_b64 v[8:11], v107 offset0:136 offset1:196
	;; [unrolled: 1-line block ×9, first 2 shown]
	s_waitcnt lgkmcnt(6)
	v_pk_add_f32 v[36:37], v[18:19], v[26:27] neg_lo:[0,1] neg_hi:[0,1]
	s_waitcnt lgkmcnt(4)
	v_pk_add_f32 v[32:33], v[26:27], v[22:23]
	s_waitcnt lgkmcnt(2)
	v_pk_add_f32 v[96:97], v[18:19], v[30:31] neg_lo:[0,1] neg_hi:[0,1]
	v_pk_fma_f32 v[32:33], v[32:33], 0.5, v[2:3] op_sel_hi:[1,0,1] neg_lo:[1,0,0] neg_hi:[1,0,0]
	v_pk_mul_f32 v[34:35], v[96:97], s[2:3] op_sel_hi:[1,0]
	v_pk_add_f32 v[98:99], v[26:27], v[22:23] neg_lo:[0,1] neg_hi:[0,1]
	v_pk_add_f32 v[38:39], v[30:31], v[22:23] neg_lo:[0,1] neg_hi:[0,1]
	s_waitcnt lgkmcnt(1)
	v_pk_add_f32 v[110:111], v[10:11], v[74:75] neg_lo:[0,1] neg_hi:[0,1]
	v_pk_add_f32 v[88:89], v[36:37], v[38:39]
	v_pk_add_f32 v[36:37], v[32:33], v[34:35] op_sel:[0,1] op_sel_hi:[1,0] neg_lo:[0,1] neg_hi:[0,1]
	v_pk_add_f32 v[32:33], v[32:33], v[34:35] op_sel:[0,1] op_sel_hi:[1,0]
	v_pk_mul_f32 v[34:35], v[98:99], s[10:11] op_sel_hi:[1,0]
	v_pk_add_f32 v[112:113], v[6:7], v[14:15] neg_lo:[0,1] neg_hi:[0,1]
	v_pk_add_f32 v[90:91], v[32:33], v[34:35] op_sel:[0,1] op_sel_hi:[1,0]
	v_pk_add_f32 v[92:93], v[36:37], v[34:35] op_sel:[0,1] op_sel_hi:[1,0] neg_lo:[0,1] neg_hi:[0,1]
	v_pk_add_f32 v[32:33], v[10:11], v[6:7] neg_lo:[0,1] neg_hi:[0,1]
	v_pk_add_f32 v[34:35], v[74:75], v[14:15] neg_lo:[0,1] neg_hi:[0,1]
	s_nop 0
	v_pk_add_f32 v[94:95], v[32:33], v[34:35]
	v_pk_add_f32 v[32:33], v[6:7], v[14:15]
	v_pk_mul_f32 v[34:35], v[110:111], s[2:3] op_sel_hi:[1,0]
	s_waitcnt lgkmcnt(0)
	v_pk_fma_f32 v[32:33], v[32:33], 0.5, v[78:79] op_sel_hi:[1,0,1] neg_lo:[1,0,0] neg_hi:[1,0,0]
	s_movk_i32 s3, 0x48
	v_pk_add_f32 v[36:37], v[32:33], v[34:35] op_sel:[0,1] op_sel_hi:[1,0]
	v_pk_add_f32 v[32:33], v[32:33], v[34:35] op_sel:[0,1] op_sel_hi:[1,0] neg_lo:[0,1] neg_hi:[0,1]
	v_pk_mul_f32 v[34:35], v[112:113], s[10:11] op_sel_hi:[1,0]
	v_mad_u32_u24 v109, v80, s3, v100
	v_pk_add_f32 v[36:37], v[34:35], v[36:37] op_sel:[1,0] op_sel_hi:[0,1]
	v_pk_add_f32 v[114:115], v[32:33], v[34:35] op_sel:[0,1] op_sel_hi:[1,0] neg_lo:[0,1] neg_hi:[0,1]
	v_pk_fma_f32 v[116:117], v[94:95], s[6:7], v[36:37] op_sel_hi:[1,0,1]
	v_mov_b32_e32 v36, v114
	v_pk_fma_f32 v[32:33], v[94:95], s[6:7], v[36:37] op_sel_hi:[1,0,1]
	s_nop 0
	v_pk_mul_f32 v[34:35], v[32:33], s[10:11] op_sel_hi:[1,0]
	s_nop 0
	v_pk_fma_f32 v[118:119], v[32:33], s[12:13], v[34:35] op_sel:[0,0,1] op_sel_hi:[1,0,0] neg_lo:[0,0,1] neg_hi:[0,0,1]
	v_pk_fma_f32 v[32:33], v[32:33], s[12:13], v[34:35] op_sel:[0,0,1] op_sel_hi:[1,0,0]
	s_nop 0
	v_mov_b32_e32 v119, v33
	v_pk_add_f32 v[32:33], v[2:3], v[18:19]
	s_nop 0
	v_pk_add_f32 v[32:33], v[32:33], v[26:27]
	s_nop 0
	;; [unrolled: 2-line block ×3, first 2 shown]
	v_pk_add_f32 v[120:121], v[32:33], v[30:31]
	v_pk_add_f32 v[32:33], v[78:79], v[10:11]
	s_nop 0
	v_pk_add_f32 v[32:33], v[32:33], v[6:7]
	s_nop 0
	;; [unrolled: 2-line block ×3, first 2 shown]
	v_pk_add_f32 v[122:123], v[32:33], v[74:75]
	v_mov_b32_e32 v32, v92
	v_mov_b32_e32 v33, v91
	v_pk_fma_f32 v[124:125], v[88:89], s[6:7], v[32:33] op_sel_hi:[1,0,1]
	v_add_u32_e32 v32, 0x1c00, v100
	v_add_u32_e32 v33, 0x4000, v100
	;; [unrolled: 1-line block ×3, first 2 shown]
	v_pk_add_f32 v[126:127], v[120:121], v[122:123]
	v_pk_add_f32 v[128:129], v[124:125], v[118:119]
	ds_read2_b64 v[36:39], v32 offset0:88 offset1:148
	ds_read2_b64 v[52:55], v33 offset0:16 offset1:76
	;; [unrolled: 1-line block ×5, first 2 shown]
	ds_read2_b64 v[56:59], v101 offset1:60
	ds_read2_b64 v[60:63], v102 offset0:176 offset1:236
	ds_read2_b64 v[44:47], v106 offset0:136 offset1:196
	;; [unrolled: 1-line block ×4, first 2 shown]
	s_waitcnt lgkmcnt(0)
	; wave barrier
	s_waitcnt lgkmcnt(0)
	ds_write2_b64 v91, v[126:127], v[128:129] offset1:1
	v_mov_b32_e32 v126, v6
	v_mov_b32_e32 v127, v14
	;; [unrolled: 1-line block ×4, first 2 shown]
	v_pk_add_f32 v[126:127], v[126:127], v[128:129] neg_lo:[0,1] neg_hi:[0,1]
	v_mov_b32_e32 v14, v11
	v_mov_b32_e32 v6, v127
	v_pk_add_f32 v[126:127], v[126:127], v[6:7]
	v_mov_b32_e32 v6, v7
	v_mov_b32_e32 v7, v15
	;; [unrolled: 1-line block ×3, first 2 shown]
	v_pk_add_f32 v[6:7], v[6:7], v[14:15] neg_lo:[0,1] neg_hi:[0,1]
	v_pk_add_f32 v[10:11], v[10:11], v[74:75]
	v_mov_b32_e32 v14, v7
	v_pk_add_f32 v[6:7], v[6:7], v[14:15]
	v_fma_f32 v74, -0.5, v10, v78
	v_fma_f32 v75, -0.5, v11, v79
	v_pk_add_f32 v[10:11], v[26:27], v[18:19] neg_lo:[0,1] neg_hi:[0,1]
	v_pk_add_f32 v[14:15], v[22:23], v[30:31] neg_lo:[0,1] neg_hi:[0,1]
	v_mov_b32_e32 v7, v110
	v_pk_add_f32 v[10:11], v[10:11], v[14:15]
	v_pk_add_f32 v[14:15], v[18:19], v[30:31]
	v_mov_b32_e32 v127, v111
	v_pk_fma_f32 v[2:3], v[14:15], 0.5, v[2:3] op_sel_hi:[1,0,1] neg_lo:[1,0,0] neg_hi:[1,0,0]
	v_pk_mul_f32 v[14:15], v[98:99], s[2:3] op_sel_hi:[1,0]
	v_fmamk_f32 v79, v112, 0xbf737871, v75
	v_fmac_f32_e32 v75, 0x3f737871, v112
	v_pk_add_f32 v[18:19], v[2:3], v[14:15] op_sel:[0,1] op_sel_hi:[1,0]
	v_pk_add_f32 v[2:3], v[2:3], v[14:15] op_sel:[0,1] op_sel_hi:[1,0] neg_lo:[0,1] neg_hi:[0,1]
	v_pk_mul_f32 v[14:15], v[96:97], s[10:11] op_sel_hi:[1,0]
	v_pk_mul_f32 v[6:7], v[6:7], s[6:7]
	v_fmamk_f32 v78, v113, 0x3f737871, v74
	v_fmac_f32_e32 v74, 0xbf737871, v113
	v_pk_add_f32 v[2:3], v[2:3], v[14:15] op_sel:[0,1] op_sel_hi:[1,0]
	v_pk_add_f32 v[14:15], v[18:19], v[14:15] op_sel:[0,1] op_sel_hi:[1,0] neg_lo:[0,1] neg_hi:[0,1]
	v_pk_mul_f32 v[18:19], v[126:127], s[6:7]
	v_add_f32_e32 v22, v7, v79
	v_sub_f32_e32 v7, v75, v7
	v_sub_f32_e32 v26, v78, v19
	v_add_f32_e32 v22, v6, v22
	v_add_f32_e32 v19, v19, v74
	;; [unrolled: 1-line block ×3, first 2 shown]
	v_pk_mul_f32 v[22:23], v[22:23], s[14:15] op_sel_hi:[0,1]
	v_add_f32_e32 v26, v18, v26
	v_add_f32_e32 v18, v18, v19
	v_pk_mul_f32 v[6:7], v[6:7], s[14:15] op_sel_hi:[0,1]
	v_pk_fma_f32 v[30:31], v[26:27], s[8:9], v[22:23] neg_lo:[0,0,1] neg_hi:[0,0,1]
	v_pk_fma_f32 v[22:23], v[26:27], s[8:9], v[22:23] op_sel_hi:[0,1,1]
	v_pk_fma_f32 v[6:7], v[18:19], s[16:17], v[6:7] op_sel_hi:[0,1,1] neg_lo:[0,0,1] neg_hi:[0,0,1]
	v_mov_b32_e32 v18, v14
	v_mov_b32_e32 v19, v3
	v_mov_b32_e32 v3, v15
	v_mov_b32_e32 v31, v23
	v_pk_fma_f32 v[14:15], v[10:11], s[6:7], v[18:19] op_sel_hi:[1,0,1]
	v_pk_fma_f32 v[2:3], v[10:11], s[6:7], v[2:3] op_sel_hi:[1,0,1]
	v_add_u32_e32 v22, 0x12d0, v109
	v_pk_add_f32 v[10:11], v[14:15], v[30:31]
	v_pk_add_f32 v[18:19], v[2:3], v[6:7]
	ds_write2_b64 v22, v[10:11], v[18:19] offset1:1
	v_pk_fma_f32 v[10:11], v[94:95], s[6:7], v[114:115] op_sel_hi:[1,0,1]
	v_mov_b32_e32 v91, v93
	v_pk_mul_f32 v[10:11], v[10:11], s[20:21] op_sel:[1,0]
	v_pk_fma_f32 v[18:19], v[88:89], s[6:7], v[90:91] op_sel_hi:[1,0,1]
	v_pk_fma_f32 v[10:11], v[116:117], s[18:19], v[10:11] op_sel_hi:[0,1,1] neg_lo:[0,0,1] neg_hi:[0,0,1]
	v_pk_add_f32 v[26:27], v[18:19], v[10:11]
	v_pk_add_f32 v[2:3], v[2:3], v[6:7] neg_lo:[0,1] neg_hi:[0,1]
	v_pk_add_f32 v[6:7], v[18:19], v[10:11] neg_lo:[0,1] neg_hi:[0,1]
	v_add_u32_e32 v10, 0x1300, v109
	v_pk_add_f32 v[22:23], v[120:121], v[122:123] neg_lo:[0,1] neg_hi:[0,1]
	v_add_u32_e32 v74, 0x12e0, v109
	ds_write2_b64 v10, v[2:3], v[6:7] offset1:1
	v_pk_add_f32 v[2:3], v[40:41], v[36:37] neg_lo:[0,1] neg_hi:[0,1]
	v_pk_add_f32 v[6:7], v[48:49], v[44:45] neg_lo:[0,1] neg_hi:[0,1]
	ds_write2_b64 v74, v[26:27], v[22:23] offset1:1
	v_pk_add_f32 v[22:23], v[124:125], v[118:119] neg_lo:[0,1] neg_hi:[0,1]
	v_pk_add_f32 v[14:15], v[14:15], v[30:31] neg_lo:[0,1] neg_hi:[0,1]
	v_add_u32_e32 v26, 0x12f0, v109
	v_pk_add_f32 v[2:3], v[2:3], v[6:7]
	v_pk_add_f32 v[6:7], v[36:37], v[44:45]
	v_pk_add_f32 v[10:11], v[40:41], v[48:49] neg_lo:[0,1] neg_hi:[0,1]
	ds_write2_b64 v26, v[22:23], v[14:15] offset1:1
	v_pk_fma_f32 v[6:7], v[6:7], 0.5, v[32:33] op_sel_hi:[1,0,1] neg_lo:[1,0,0] neg_hi:[1,0,0]
	v_pk_mul_f32 v[14:15], v[10:11], s[2:3] op_sel_hi:[1,0]
	v_pk_add_f32 v[26:27], v[52:53], v[64:65] neg_lo:[0,1] neg_hi:[0,1]
	v_pk_add_f32 v[18:19], v[6:7], v[14:15] op_sel:[0,1] op_sel_hi:[1,0] neg_lo:[0,1] neg_hi:[0,1]
	v_pk_add_f32 v[6:7], v[6:7], v[14:15] op_sel:[0,1] op_sel_hi:[1,0]
	v_pk_add_f32 v[14:15], v[36:37], v[44:45] neg_lo:[0,1] neg_hi:[0,1]
	v_pk_add_f32 v[30:31], v[56:57], v[52:53] neg_lo:[0,1] neg_hi:[0,1]
	v_pk_mul_f32 v[22:23], v[14:15], s[10:11] op_sel_hi:[1,0]
	v_pk_mul_f32 v[74:75], v[30:31], s[2:3] op_sel_hi:[1,0]
	v_pk_add_f32 v[6:7], v[6:7], v[22:23] op_sel:[0,1] op_sel_hi:[1,0]
	v_pk_add_f32 v[18:19], v[18:19], v[22:23] op_sel:[0,1] op_sel_hi:[1,0] neg_lo:[0,1] neg_hi:[0,1]
	v_pk_add_f32 v[22:23], v[56:57], v[60:61] neg_lo:[0,1] neg_hi:[0,1]
	v_mov_b32_e32 v94, v18
	v_pk_add_f32 v[22:23], v[22:23], v[26:27]
	v_pk_add_f32 v[26:27], v[60:61], v[64:65]
	v_mov_b32_e32 v95, v7
	v_pk_fma_f32 v[26:27], v[26:27], 0.5, v[68:69] op_sel_hi:[1,0,1] neg_lo:[1,0,0] neg_hi:[1,0,0]
	v_pk_fma_f32 v[94:95], v[2:3], s[6:7], v[94:95] op_sel_hi:[1,0,1]
	v_pk_add_f32 v[78:79], v[26:27], v[74:75] op_sel:[0,1] op_sel_hi:[1,0]
	v_pk_add_f32 v[26:27], v[26:27], v[74:75] op_sel:[0,1] op_sel_hi:[1,0] neg_lo:[0,1] neg_hi:[0,1]
	v_pk_add_f32 v[74:75], v[60:61], v[64:65] neg_lo:[0,1] neg_hi:[0,1]
	v_add_u32_e32 v7, 0x2580, v109
	v_pk_mul_f32 v[88:89], v[74:75], s[10:11] op_sel_hi:[1,0]
	v_pk_mul_f32 v[14:15], v[14:15], s[2:3] op_sel_hi:[1,0]
	v_pk_add_f32 v[78:79], v[88:89], v[78:79] op_sel:[1,0] op_sel_hi:[0,1]
	v_pk_add_f32 v[26:27], v[26:27], v[88:89] op_sel:[0,1] op_sel_hi:[1,0] neg_lo:[0,1] neg_hi:[0,1]
	v_pk_fma_f32 v[88:89], v[22:23], s[6:7], v[78:79] op_sel_hi:[1,0,1]
	v_mov_b32_e32 v78, v26
	v_pk_fma_f32 v[78:79], v[22:23], s[6:7], v[78:79] op_sel_hi:[1,0,1]
	v_pk_mul_f32 v[10:11], v[10:11], s[10:11] op_sel_hi:[1,0]
	v_pk_mul_f32 v[90:91], v[78:79], s[10:11] op_sel_hi:[1,0]
	v_pk_fma_f32 v[22:23], v[22:23], s[6:7], v[26:27] op_sel_hi:[1,0,1]
	v_pk_fma_f32 v[92:93], v[78:79], s[12:13], v[90:91] op_sel:[0,0,1] op_sel_hi:[1,0,0] neg_lo:[0,0,1] neg_hi:[0,0,1]
	v_pk_fma_f32 v[78:79], v[78:79], s[12:13], v[90:91] op_sel:[0,0,1] op_sel_hi:[1,0,0]
	v_pk_add_f32 v[90:91], v[68:69], v[56:57]
	v_mov_b32_e32 v93, v79
	v_pk_add_f32 v[78:79], v[32:33], v[40:41]
	v_pk_add_f32 v[90:91], v[90:91], v[60:61]
	;; [unrolled: 1-line block ×9, first 2 shown]
	ds_write2_b64 v7, v[96:97], v[98:99] offset1:1
	v_mov_b32_e32 v96, v60
	v_mov_b32_e32 v97, v64
	v_mov_b32_e32 v98, v56
	v_mov_b32_e32 v99, v52
	v_pk_add_f32 v[96:97], v[96:97], v[98:99] neg_lo:[0,1] neg_hi:[0,1]
	v_mov_b32_e32 v60, v61
	v_mov_b32_e32 v61, v65
	;; [unrolled: 1-line block ×5, first 2 shown]
	v_pk_add_f32 v[60:61], v[60:61], v[64:65] neg_lo:[0,1] neg_hi:[0,1]
	v_pk_add_f32 v[96:97], v[96:97], v[18:19]
	v_mov_b32_e32 v18, v61
	v_pk_add_f32 v[60:61], v[60:61], v[18:19]
	v_mov_b32_e32 v97, v31
	v_mov_b32_e32 v61, v30
	v_pk_add_f32 v[30:31], v[56:57], v[52:53]
	v_add_u32_e32 v26, 0x25a0, v109
	v_fma_f32 v7, -0.5, v30, v68
	v_fma_f32 v52, -0.5, v31, v69
	v_pk_add_f32 v[30:31], v[36:37], v[40:41] neg_lo:[0,1] neg_hi:[0,1]
	v_pk_add_f32 v[36:37], v[44:45], v[48:49] neg_lo:[0,1] neg_hi:[0,1]
	v_fmamk_f32 v18, v75, 0x3f737871, v7
	v_pk_add_f32 v[30:31], v[30:31], v[36:37]
	v_pk_add_f32 v[36:37], v[40:41], v[48:49]
	v_fmamk_f32 v53, v74, 0xbf737871, v52
	v_pk_fma_f32 v[32:33], v[36:37], 0.5, v[32:33] op_sel_hi:[1,0,1] neg_lo:[1,0,0] neg_hi:[1,0,0]
	v_fmac_f32_e32 v7, 0xbf737871, v75
	v_pk_add_f32 v[36:37], v[32:33], v[14:15] op_sel:[0,1] op_sel_hi:[1,0]
	v_pk_add_f32 v[14:15], v[32:33], v[14:15] op_sel:[0,1] op_sel_hi:[1,0] neg_lo:[0,1] neg_hi:[0,1]
	v_pk_mul_f32 v[32:33], v[96:97], s[6:7]
	v_pk_add_f32 v[14:15], v[14:15], v[10:11] op_sel:[0,1] op_sel_hi:[1,0]
	v_pk_add_f32 v[10:11], v[36:37], v[10:11] op_sel:[0,1] op_sel_hi:[1,0] neg_lo:[0,1] neg_hi:[0,1]
	v_pk_mul_f32 v[36:37], v[60:61], s[6:7]
	v_sub_f32_e32 v44, v18, v33
	v_add_f32_e32 v18, v37, v53
	v_add_f32_e32 v18, v36, v18
	v_fmac_f32_e32 v52, 0x3f737871, v74
	v_pk_mul_f32 v[40:41], v[18:19], s[14:15] op_sel_hi:[0,1]
	v_add_f32_e32 v18, v32, v44
	v_add_f32_e32 v7, v33, v7
	v_pk_fma_f32 v[44:45], v[18:19], s[8:9], v[40:41] neg_lo:[0,0,1] neg_hi:[0,0,1]
	v_pk_fma_f32 v[40:41], v[18:19], s[8:9], v[40:41] op_sel_hi:[0,1,1]
	v_add_f32_e32 v18, v32, v7
	v_sub_f32_e32 v7, v52, v37
	v_add_f32_e32 v32, v36, v7
	v_pk_mul_f32 v[32:33], v[32:33], s[14:15] op_sel_hi:[0,1]
	v_mov_b32_e32 v36, v10
	v_mov_b32_e32 v37, v15
	;; [unrolled: 1-line block ×4, first 2 shown]
	v_pk_fma_f32 v[32:33], v[18:19], s[16:17], v[32:33] op_sel_hi:[0,1,1] neg_lo:[0,0,1] neg_hi:[0,0,1]
	v_pk_fma_f32 v[10:11], v[30:31], s[6:7], v[36:37] op_sel_hi:[1,0,1]
	v_pk_fma_f32 v[14:15], v[30:31], s[6:7], v[14:15] op_sel_hi:[1,0,1]
	v_add_u32_e32 v7, 0x2590, v109
	v_pk_add_f32 v[30:31], v[10:11], v[44:45]
	v_pk_add_f32 v[36:37], v[14:15], v[32:33]
	ds_write2_b64 v7, v[30:31], v[36:37] offset1:1
	v_mov_b32_e32 v7, v19
	v_pk_fma_f32 v[2:3], v[2:3], s[6:7], v[6:7] op_sel_hi:[1,0,1]
	v_pk_mul_f32 v[6:7], v[22:23], s[20:21] op_sel:[1,0]
	v_pk_add_f32 v[18:19], v[78:79], v[90:91] neg_lo:[0,1] neg_hi:[0,1]
	v_pk_fma_f32 v[6:7], v[88:89], s[18:19], v[6:7] op_sel_hi:[0,1,1] neg_lo:[0,0,1] neg_hi:[0,0,1]
	v_pk_add_f32 v[22:23], v[2:3], v[6:7]
	ds_write2_b64 v26, v[22:23], v[18:19] offset1:1
	v_pk_add_f32 v[18:19], v[94:95], v[92:93] neg_lo:[0,1] neg_hi:[0,1]
	v_pk_add_f32 v[10:11], v[10:11], v[44:45] neg_lo:[0,1] neg_hi:[0,1]
	v_add_u32_e32 v22, 0x25b0, v109
	ds_write2_b64 v22, v[18:19], v[10:11] offset1:1
	v_pk_add_f32 v[10:11], v[0:1], v[16:17]
	v_pk_add_f32 v[44:45], v[76:77], v[8:9]
	;; [unrolled: 1-line block ×4, first 2 shown]
	v_pk_add_f32 v[22:23], v[24:25], v[20:21] neg_lo:[0,1] neg_hi:[0,1]
	v_pk_add_f32 v[26:27], v[16:17], v[24:25] neg_lo:[0,1] neg_hi:[0,1]
	;; [unrolled: 1-line block ×4, first 2 shown]
	v_pk_add_f32 v[16:17], v[16:17], v[28:29]
	v_pk_add_f32 v[10:11], v[10:11], v[20:21]
	v_pk_add_f32 v[36:37], v[28:29], v[20:21] neg_lo:[0,1] neg_hi:[0,1]
	v_pk_add_f32 v[44:45], v[44:45], v[4:5]
	v_pk_add_f32 v[20:21], v[20:21], v[28:29] neg_lo:[0,1] neg_hi:[0,1]
	v_pk_add_f32 v[10:11], v[10:11], v[28:29]
	v_pk_add_f32 v[28:29], v[8:9], v[72:73]
	v_mov_b32_e32 v40, v8
	v_mov_b32_e32 v48, v9
	v_pk_add_f32 v[52:53], v[8:9], v[72:73] neg_lo:[0,1] neg_hi:[0,1]
	v_pk_add_f32 v[8:9], v[8:9], v[4:5] neg_lo:[0,1] neg_hi:[0,1]
	v_mov_b32_e32 v56, v4
	v_mov_b32_e32 v60, v5
	v_pk_add_f32 v[64:65], v[4:5], v[12:13]
	v_pk_add_f32 v[4:5], v[4:5], v[12:13] neg_lo:[0,1] neg_hi:[0,1]
	v_mov_b32_e32 v57, v12
	v_pk_add_f32 v[44:45], v[44:45], v[12:13]
	v_mov_b32_e32 v61, v13
	v_pk_add_f32 v[12:13], v[72:73], v[12:13] neg_lo:[0,1] neg_hi:[0,1]
	v_pk_fma_f32 v[18:19], v[18:19], 0.5, v[0:1] op_sel_hi:[1,0,1] neg_lo:[1,0,0] neg_hi:[1,0,0]
	v_pk_fma_f32 v[0:1], v[16:17], 0.5, v[0:1] op_sel_hi:[1,0,1] neg_lo:[1,0,0] neg_hi:[1,0,0]
	v_pk_add_f32 v[16:17], v[26:27], v[36:37]
	v_pk_mul_f32 v[26:27], v[30:31], s[2:3] op_sel_hi:[1,0]
	v_fma_f32 v74, -0.5, v28, v76
	v_fma_f32 v75, -0.5, v29, v77
	v_pk_fma_f32 v[28:29], v[64:65], 0.5, v[76:77] op_sel_hi:[1,0,1] neg_lo:[1,0,0] neg_hi:[1,0,0]
	v_pk_add_f32 v[36:37], v[18:19], v[26:27] op_sel:[0,1] op_sel_hi:[1,0] neg_lo:[0,1] neg_hi:[0,1]
	v_pk_add_f32 v[18:19], v[18:19], v[26:27] op_sel:[0,1] op_sel_hi:[1,0]
	v_pk_mul_f32 v[26:27], v[22:23], s[10:11] op_sel_hi:[1,0]
	v_pk_add_f32 v[8:9], v[8:9], v[12:13]
	v_pk_mul_f32 v[12:13], v[52:53], s[2:3] op_sel_hi:[1,0]
	v_pk_add_f32 v[18:19], v[18:19], v[26:27] op_sel:[0,1] op_sel_hi:[1,0]
	v_pk_add_f32 v[26:27], v[36:37], v[26:27] op_sel:[0,1] op_sel_hi:[1,0] neg_lo:[0,1] neg_hi:[0,1]
	v_pk_add_f32 v[36:37], v[28:29], v[12:13] op_sel:[0,1] op_sel_hi:[1,0]
	v_pk_add_f32 v[12:13], v[28:29], v[12:13] op_sel:[0,1] op_sel_hi:[1,0] neg_lo:[0,1] neg_hi:[0,1]
	v_pk_mul_f32 v[28:29], v[4:5], s[10:11] op_sel_hi:[1,0]
	v_mov_b32_e32 v41, v72
	v_pk_add_f32 v[36:37], v[28:29], v[36:37] op_sel:[1,0] op_sel_hi:[0,1]
	v_pk_add_f32 v[12:13], v[12:13], v[28:29] op_sel:[0,1] op_sel_hi:[1,0] neg_lo:[0,1] neg_hi:[0,1]
	v_pk_fma_f32 v[28:29], v[8:9], s[6:7], v[36:37] op_sel_hi:[1,0,1]
	v_mov_b32_e32 v36, v12
	v_pk_fma_f32 v[36:37], v[8:9], s[6:7], v[36:37] op_sel_hi:[1,0,1]
	v_mov_b32_e32 v49, v73
	v_pk_mul_f32 v[64:65], v[36:37], s[10:11] op_sel_hi:[1,0]
	v_pk_add_f32 v[40:41], v[56:57], v[40:41] neg_lo:[0,1] neg_hi:[0,1]
	v_pk_fma_f32 v[68:69], v[36:37], s[12:13], v[64:65] op_sel:[0,0,1] op_sel_hi:[1,0,0] neg_lo:[0,0,1] neg_hi:[0,0,1]
	v_pk_fma_f32 v[36:37], v[36:37], s[12:13], v[64:65] op_sel:[0,0,1] op_sel_hi:[1,0,0]
	v_pk_add_f32 v[48:49], v[60:61], v[48:49] neg_lo:[0,1] neg_hi:[0,1]
	v_mov_b32_e32 v36, v26
	v_mov_b32_e32 v26, v41
	v_pk_add_f32 v[40:41], v[40:41], v[26:27]
	v_mov_b32_e32 v26, v49
	v_pk_add_f32 v[48:49], v[48:49], v[26:27]
	v_mov_b32_e32 v69, v37
	v_mov_b32_e32 v37, v19
	v_mov_b32_e32 v49, v52
	v_fmamk_f32 v19, v5, 0x3f737871, v74
	v_fmac_f32_e32 v74, 0xbf737871, v5
	v_fmamk_f32 v26, v4, 0xbf737871, v75
	v_fmac_f32_e32 v75, 0x3f737871, v4
	v_pk_add_f32 v[4:5], v[24:25], v[20:21]
	v_pk_mul_f32 v[20:21], v[22:23], s[2:3] op_sel_hi:[1,0]
	v_mov_b32_e32 v41, v53
	v_pk_add_f32 v[22:23], v[0:1], v[20:21] op_sel:[0,1] op_sel_hi:[1,0]
	v_pk_add_f32 v[0:1], v[0:1], v[20:21] op_sel:[0,1] op_sel_hi:[1,0] neg_lo:[0,1] neg_hi:[0,1]
	v_pk_mul_f32 v[20:21], v[30:31], s[10:11] op_sel_hi:[1,0]
	v_pk_mul_f32 v[24:25], v[48:49], s[6:7]
	v_pk_add_f32 v[0:1], v[0:1], v[20:21] op_sel:[0,1] op_sel_hi:[1,0]
	v_pk_add_f32 v[20:21], v[22:23], v[20:21] op_sel:[0,1] op_sel_hi:[1,0] neg_lo:[0,1] neg_hi:[0,1]
	v_pk_mul_f32 v[22:23], v[40:41], s[6:7]
	v_add_f32_e32 v26, v25, v26
	v_sub_f32_e32 v19, v19, v23
	v_add_f32_e32 v26, v24, v26
	v_pk_mul_f32 v[30:31], v[26:27], s[14:15] op_sel_hi:[0,1]
	v_add_f32_e32 v26, v22, v19
	v_add_f32_e32 v19, v23, v74
	;; [unrolled: 1-line block ×3, first 2 shown]
	v_sub_f32_e32 v19, v75, v25
	v_add_f32_e32 v24, v24, v19
	v_pk_mul_f32 v[24:25], v[24:25], s[14:15] op_sel_hi:[0,1]
	v_pk_fma_f32 v[40:41], v[26:27], s[8:9], v[30:31] neg_lo:[0,0,1] neg_hi:[0,0,1]
	v_pk_fma_f32 v[30:31], v[26:27], s[8:9], v[30:31] op_sel_hi:[0,1,1]
	v_pk_fma_f32 v[22:23], v[22:23], s[16:17], v[24:25] op_sel_hi:[0,1,1] neg_lo:[0,0,1] neg_hi:[0,0,1]
	v_mov_b32_e32 v24, v20
	v_mov_b32_e32 v25, v1
	v_mov_b32_e32 v1, v21
	v_mov_b32_e32 v41, v31
	v_pk_fma_f32 v[20:21], v[4:5], s[6:7], v[24:25] op_sel_hi:[1,0,1]
	v_pk_fma_f32 v[0:1], v[4:5], s[6:7], v[0:1] op_sel_hi:[1,0,1]
	v_pk_add_f32 v[4:5], v[20:21], v[40:41]
	v_pk_add_f32 v[24:25], v[0:1], v[22:23]
	ds_write2_b64 v109, v[4:5], v[24:25] offset0:2 offset1:3
	v_pk_fma_f32 v[4:5], v[8:9], s[6:7], v[12:13] op_sel_hi:[1,0,1]
	v_mov_b32_e32 v19, v27
	v_pk_mul_f32 v[4:5], v[4:5], s[20:21] op_sel:[1,0]
	v_pk_add_f32 v[44:45], v[44:45], v[72:73]
	v_pk_fma_f32 v[8:9], v[16:17], s[6:7], v[18:19] op_sel_hi:[1,0,1]
	v_pk_fma_f32 v[4:5], v[28:29], s[18:19], v[4:5] op_sel_hi:[0,1,1] neg_lo:[0,0,1] neg_hi:[0,0,1]
	v_pk_fma_f32 v[36:37], v[16:17], s[6:7], v[36:37] op_sel_hi:[1,0,1]
	v_pk_add_f32 v[64:65], v[10:11], v[44:45]
	v_pk_add_f32 v[10:11], v[10:11], v[44:45] neg_lo:[0,1] neg_hi:[0,1]
	v_pk_add_f32 v[12:13], v[8:9], v[4:5]
	v_pk_add_f32 v[0:1], v[0:1], v[22:23] neg_lo:[0,1] neg_hi:[0,1]
	v_pk_add_f32 v[4:5], v[8:9], v[4:5] neg_lo:[0,1] neg_hi:[0,1]
	v_pk_add_f32 v[72:73], v[36:37], v[68:69]
	ds_write2_b64 v109, v[12:13], v[10:11] offset0:4 offset1:5
	v_pk_add_f32 v[10:11], v[36:37], v[68:69] neg_lo:[0,1] neg_hi:[0,1]
	v_pk_add_f32 v[12:13], v[20:21], v[40:41] neg_lo:[0,1] neg_hi:[0,1]
	ds_write2_b64 v109, v[0:1], v[4:5] offset0:8 offset1:9
	v_pk_add_f32 v[0:1], v[14:15], v[32:33] neg_lo:[0,1] neg_hi:[0,1]
	v_pk_add_f32 v[2:3], v[2:3], v[6:7] neg_lo:[0,1] neg_hi:[0,1]
	v_add_u32_e32 v4, 0x25c0, v109
	s_mov_b32 s2, -0.5
	ds_write2_b64 v109, v[64:65], v[72:73] offset1:1
	ds_write2_b64 v109, v[10:11], v[12:13] offset0:6 offset1:7
	ds_write2_b64 v4, v[0:1], v[2:3] offset1:1
	s_and_saveexec_b64 s[10:11], vcc
	s_cbranch_execz .LBB0_19
; %bb.18:
	v_mov_b32_e32 v0, v62
	v_mov_b32_e32 v1, v66
	;; [unrolled: 1-line block ×4, first 2 shown]
	v_pk_add_f32 v[0:1], v[0:1], v[2:3] neg_lo:[0,1] neg_hi:[0,1]
	v_mov_b32_e32 v4, v63
	v_mov_b32_e32 v2, v1
	;; [unrolled: 1-line block ×5, first 2 shown]
	v_pk_add_f32 v[0:1], v[0:1], v[2:3]
	v_pk_add_f32 v[2:3], v[58:59], v[54:55]
	v_pk_add_f32 v[4:5], v[4:5], v[6:7] neg_lo:[0,1] neg_hi:[0,1]
	v_pk_add_f32 v[20:21], v[42:43], v[38:39] neg_lo:[0,1] neg_hi:[0,1]
	;; [unrolled: 1-line block ×3, first 2 shown]
	v_fma_f32 v44, -0.5, v2, v70
	v_mov_b32_e32 v2, v5
	s_mov_b32 s20, s9
	v_pk_add_f32 v[20:21], v[20:21], v[22:23]
	v_pk_add_f32 v[22:23], v[62:63], v[66:67]
	v_pk_add_f32 v[24:25], v[58:59], v[54:55] neg_lo:[0,1] neg_hi:[0,1]
	v_pk_add_f32 v[4:5], v[4:5], v[2:3]
	s_mov_b32 s22, s7
	v_pk_fma_f32 v[22:23], v[22:23], 0.5, v[70:71] op_sel_hi:[1,0,1] neg_lo:[1,0,0] neg_hi:[1,0,0]
	v_pk_mul_f32 v[26:27], v[24:25], s[20:21] op_sel_hi:[1,0]
	v_pk_add_f32 v[30:31], v[62:63], v[66:67] neg_lo:[0,1] neg_hi:[0,1]
	v_mov_b32_e32 v1, v25
	v_pk_add_f32 v[28:29], v[22:23], v[26:27] op_sel:[0,1] op_sel_hi:[1,0]
	v_pk_mul_f32 v[32:33], v[30:31], s[22:23] op_sel_hi:[1,0]
	v_pk_add_f32 v[36:37], v[58:59], v[62:63] neg_lo:[0,1] neg_hi:[0,1]
	v_pk_add_f32 v[40:41], v[54:55], v[66:67] neg_lo:[0,1] neg_hi:[0,1]
	v_pk_mul_f32 v[0:1], v[0:1], s[6:7]
	v_fmamk_f32 v5, v31, 0xbf737871, v44
	v_pk_add_f32 v[28:29], v[32:33], v[28:29] op_sel:[1,0] op_sel_hi:[0,1]
	v_pk_add_f32 v[36:37], v[36:37], v[40:41]
	v_pk_add_f32 v[22:23], v[22:23], v[26:27] op_sel:[0,1] op_sel_hi:[1,0] neg_lo:[0,1] neg_hi:[0,1]
	v_add_f32_e32 v5, v1, v5
	v_fma_f32 v45, -0.5, v3, v71
	v_pk_fma_f32 v[40:41], v[36:37], s[6:7], v[28:29] op_sel_hi:[1,0,1]
	v_pk_add_f32 v[22:23], v[22:23], v[32:33] op_sel:[0,1] op_sel_hi:[1,0] neg_lo:[0,1] neg_hi:[0,1]
	v_add_f32_e32 v28, v0, v5
	v_mov_b32_e32 v5, v24
	v_mul_u32_u24_e32 v10, 0x48, v80
	v_pk_fma_f32 v[26:27], v[36:37], s[6:7], v[22:23] op_sel_hi:[1,0,1]
	v_fmamk_f32 v23, v30, 0x3f737871, v45
	v_pk_mul_f32 v[4:5], v[4:5], s[6:7]
	v_add_u32_e32 v48, v100, v10
	v_pk_add_f32 v[10:11], v[38:39], v[46:47]
	v_pk_add_f32 v[12:13], v[42:43], v[50:51] neg_lo:[0,1] neg_hi:[0,1]
	v_sub_f32_e32 v23, v23, v5
	v_pk_fma_f32 v[10:11], v[10:11], 0.5, v[34:35] op_sel_hi:[1,0,1] neg_lo:[1,0,0] neg_hi:[1,0,0]
	v_pk_mul_f32 v[14:15], v[12:13], s[20:21] op_sel_hi:[1,0]
	v_pk_add_f32 v[16:17], v[38:39], v[46:47] neg_lo:[0,1] neg_hi:[0,1]
	v_add_f32_e32 v24, v4, v23
	v_mov_b32_e32 v23, v29
	v_pk_add_f32 v[2:3], v[34:35], v[42:43]
	v_pk_add_f32 v[6:7], v[70:71], v[58:59]
	v_pk_mul_f32 v[18:19], v[16:17], s[22:23] op_sel_hi:[1,0]
	v_fmac_f32_e32 v44, 0x3f737871, v31
	v_fmac_f32_e32 v45, 0xbf737871, v30
	v_pk_fma_f32 v[22:23], v[36:37], s[6:7], v[22:23] op_sel_hi:[1,0,1]
	v_pk_add_f32 v[30:31], v[10:11], v[14:15] op_sel:[0,1] op_sel_hi:[1,0] neg_lo:[0,1] neg_hi:[0,1]
	v_pk_add_f32 v[10:11], v[10:11], v[14:15] op_sel:[0,1] op_sel_hi:[1,0]
	v_pk_add_f32 v[2:3], v[2:3], v[38:39]
	v_pk_add_f32 v[6:7], v[6:7], v[62:63]
	v_pk_add_f32 v[10:11], v[10:11], v[18:19] op_sel:[0,1] op_sel_hi:[1,0]
	v_pk_add_f32 v[14:15], v[30:31], v[18:19] op_sel:[0,1] op_sel_hi:[1,0] neg_lo:[0,1] neg_hi:[0,1]
	v_pk_mul_f32 v[30:31], v[22:23], s[22:23] op_sel_hi:[1,0]
	v_pk_add_f32 v[2:3], v[2:3], v[46:47]
	v_pk_add_f32 v[6:7], v[6:7], v[66:67]
	v_mov_b32_e32 v18, v14
	v_mov_b32_e32 v19, v11
	v_pk_fma_f32 v[32:33], v[22:23], s[12:13], v[30:31] op_sel:[0,0,1] op_sel_hi:[1,0,0] neg_lo:[0,0,1] neg_hi:[0,0,1]
	v_pk_fma_f32 v[22:23], v[22:23], s[12:13], v[30:31] op_sel:[0,0,1] op_sel_hi:[1,0,0]
	v_pk_add_f32 v[2:3], v[2:3], v[50:51]
	v_pk_add_f32 v[6:7], v[6:7], v[54:55]
	v_pk_fma_f32 v[18:19], v[20:21], s[6:7], v[18:19] op_sel_hi:[1,0,1]
	v_mov_b32_e32 v33, v23
	v_pk_add_f32 v[8:9], v[2:3], v[6:7]
	v_add_u32_e32 v49, 0x3840, v48
	v_pk_add_f32 v[22:23], v[18:19], v[32:33]
	ds_write2_b64 v49, v[8:9], v[22:23] offset1:1
	v_pk_add_f32 v[8:9], v[38:39], v[42:43] neg_lo:[0,1] neg_hi:[0,1]
	v_pk_add_f32 v[22:23], v[46:47], v[50:51] neg_lo:[0,1] neg_hi:[0,1]
	v_sub_f32_e32 v1, v44, v1
	v_pk_add_f32 v[8:9], v[8:9], v[22:23]
	v_pk_add_f32 v[22:23], v[42:43], v[50:51]
	v_add_f32_e32 v0, v0, v1
	v_add_f32_e32 v1, v5, v45
	v_pk_fma_f32 v[22:23], v[22:23], 0.5, v[34:35] op_sel_hi:[1,0,1] neg_lo:[1,0,0] neg_hi:[1,0,0]
	v_pk_mul_f32 v[16:17], v[16:17], s[20:21] op_sel_hi:[1,0]
	v_add_f32_e32 v4, v4, v1
	v_pk_mul_f32 v[12:13], v[12:13], s[22:23] op_sel_hi:[1,0]
	v_pk_add_f32 v[30:31], v[22:23], v[16:17] op_sel:[0,1] op_sel_hi:[1,0]
	v_pk_add_f32 v[16:17], v[22:23], v[16:17] op_sel:[0,1] op_sel_hi:[1,0] neg_lo:[0,1] neg_hi:[0,1]
	v_pk_mul_f32 v[4:5], v[4:5], s[14:15] op_sel_hi:[0,1]
	v_pk_add_f32 v[16:17], v[16:17], v[12:13] op_sel:[0,1] op_sel_hi:[1,0]
	v_pk_add_f32 v[12:13], v[30:31], v[12:13] op_sel:[0,1] op_sel_hi:[1,0] neg_lo:[0,1] neg_hi:[0,1]
	v_mov_b32_e32 v23, v17
	v_mov_b32_e32 v22, v12
	v_pk_fma_f32 v[30:31], v[0:1], s[8:9], v[4:5] neg_lo:[0,0,1] neg_hi:[0,0,1]
	v_pk_fma_f32 v[0:1], v[0:1], s[8:9], v[4:5] op_sel_hi:[0,1,1]
	v_pk_mul_f32 v[4:5], v[24:25], s[14:15] op_sel_hi:[0,1]
	v_mov_b32_e32 v17, v13
	v_pk_fma_f32 v[22:23], v[8:9], s[6:7], v[22:23] op_sel_hi:[1,0,1]
	v_mov_b32_e32 v31, v1
	v_pk_fma_f32 v[4:5], v[28:29], s[16:17], v[4:5] op_sel_hi:[0,1,1] neg_lo:[0,0,1] neg_hi:[0,0,1]
	v_pk_fma_f32 v[8:9], v[8:9], s[6:7], v[16:17] op_sel_hi:[1,0,1]
	v_pk_add_f32 v[0:1], v[22:23], v[30:31]
	v_add_u32_e32 v11, 0x3850, v48
	v_pk_add_f32 v[12:13], v[8:9], v[4:5]
	ds_write2_b64 v11, v[0:1], v[12:13] offset1:1
	v_mov_b32_e32 v11, v15
	v_pk_fma_f32 v[0:1], v[20:21], s[6:7], v[10:11] op_sel_hi:[1,0,1]
	s_mov_b32 s6, 0xbf167918
	s_mov_b32 s7, s18
	v_pk_mul_f32 v[10:11], v[26:27], s[6:7] op_sel:[1,0]
	v_add_u32_e32 v14, 0x3860, v48
	v_pk_fma_f32 v[10:11], v[40:41], s[18:19], v[10:11] op_sel_hi:[0,1,1]
	v_pk_add_f32 v[12:13], v[0:1], v[10:11]
	v_pk_add_f32 v[2:3], v[2:3], v[6:7] neg_lo:[0,1] neg_hi:[0,1]
	ds_write2_b64 v14, v[12:13], v[2:3] offset1:1
	v_pk_add_f32 v[2:3], v[18:19], v[32:33] neg_lo:[0,1] neg_hi:[0,1]
	v_add_u32_e32 v12, 0x3870, v48
	v_pk_add_f32 v[6:7], v[22:23], v[30:31] neg_lo:[0,1] neg_hi:[0,1]
	ds_write2_b64 v12, v[2:3], v[6:7] offset1:1
	v_pk_add_f32 v[2:3], v[8:9], v[4:5] neg_lo:[0,1] neg_hi:[0,1]
	v_add_u32_e32 v4, 0x3880, v48
	v_pk_add_f32 v[0:1], v[0:1], v[10:11] neg_lo:[0,1] neg_hi:[0,1]
	ds_write2_b64 v4, v[2:3], v[0:1] offset1:1
.LBB0_19:
	s_or_b64 exec, exec, s[10:11]
	s_mov_b32 s3, 0xcccd
	v_mul_u32_u24_sdwa v0, v86, s3 dst_sel:DWORD dst_unused:UNUSED_PAD src0_sel:WORD_0 src1_sel:DWORD
	v_lshrrev_b32_e32 v20, 19, v0
	v_mul_u32_u24_sdwa v0, v84, s3 dst_sel:DWORD dst_unused:UNUSED_PAD src0_sel:WORD_0 src1_sel:DWORD
	v_lshrrev_b32_e32 v21, 19, v0
	v_mul_lo_u16_e32 v0, 10, v21
	v_sub_u16_e32 v22, v84, v0
	v_mul_u32_u24_e32 v0, 5, v22
	v_mul_lo_u16_e32 v1, 10, v20
	v_lshlrev_b32_e32 v0, 3, v0
	v_sub_u16_e32 v23, v86, v1
	s_waitcnt lgkmcnt(0)
	; wave barrier
	s_waitcnt lgkmcnt(0)
	global_load_dwordx4 v[12:15], v0, s[4:5]
	v_mul_u32_u24_e32 v1, 5, v23
	v_lshlrev_b32_e32 v30, 3, v1
	global_load_dwordx2 v[54:55], v30, s[4:5] offset:32
	v_add_u32_e32 v53, 60, v80
	s_movk_i32 s3, 0xcd
	global_load_dwordx2 v[28:29], v0, s[4:5] offset:32
	global_load_dwordx4 v[24:27], v0, s[4:5] offset:16
	v_mul_lo_u16_sdwa v0, v80, s3 dst_sel:DWORD dst_unused:UNUSED_PAD src0_sel:BYTE_0 src1_sel:DWORD
	v_mul_lo_u16_sdwa v8, v53, s3 dst_sel:DWORD dst_unused:UNUSED_PAD src0_sel:BYTE_0 src1_sel:DWORD
	v_lshrrev_b16_e32 v31, 11, v0
	v_lshrrev_b16_e32 v35, 11, v8
	v_mul_lo_u16_e32 v0, 10, v31
	v_mul_lo_u16_e32 v8, 10, v35
	v_sub_u16_e32 v32, v80, v0
	v_mov_b32_e32 v34, 5
	v_sub_u16_e32 v36, v53, v8
	v_mul_u32_u24_sdwa v0, v32, v34 dst_sel:DWORD dst_unused:UNUSED_PAD src0_sel:BYTE_0 src1_sel:DWORD
	v_mul_u32_u24_sdwa v8, v36, v34 dst_sel:DWORD dst_unused:UNUSED_PAD src0_sel:BYTE_0 src1_sel:DWORD
	v_lshlrev_b32_e32 v33, 3, v0
	v_lshlrev_b32_e32 v37, 3, v8
	global_load_dwordx4 v[0:3], v33, s[4:5] offset:16
	global_load_dwordx4 v[4:7], v33, s[4:5]
	global_load_dwordx2 v[46:47], v37, s[4:5] offset:32
	global_load_dwordx4 v[8:11], v37, s[4:5] offset:16
	global_load_dwordx2 v[58:59], v33, s[4:5] offset:32
	global_load_dwordx4 v[16:19], v37, s[4:5]
	v_add_u16_e32 v37, 0x78, v80
	v_mul_lo_u16_sdwa v33, v37, s3 dst_sel:DWORD dst_unused:UNUSED_PAD src0_sel:BYTE_0 src1_sel:DWORD
	v_lshrrev_b16_e32 v38, 11, v33
	v_mul_lo_u16_e32 v33, 10, v38
	v_sub_u16_e32 v39, v37, v33
	v_mul_u32_u24_sdwa v33, v39, v34 dst_sel:DWORD dst_unused:UNUSED_PAD src0_sel:BYTE_0 src1_sel:DWORD
	v_lshlrev_b32_e32 v40, 3, v33
	global_load_dwordx4 v[76:79], v40, s[4:5] offset:16
	global_load_dwordx4 v[88:91], v40, s[4:5]
	global_load_dwordx4 v[60:63], v30, s[4:5] offset:16
	global_load_dwordx4 v[42:45], v30, s[4:5]
	v_add_u16_e32 v33, 0xb4, v80
	v_mul_lo_u16_sdwa v30, v33, s3 dst_sel:DWORD dst_unused:UNUSED_PAD src0_sel:BYTE_0 src1_sel:DWORD
	v_lshrrev_b16_e32 v30, 11, v30
	v_mul_lo_u16_e32 v41, 10, v30
	v_sub_u16_e32 v41, v33, v41
	v_mul_u32_u24_sdwa v34, v41, v34 dst_sel:DWORD dst_unused:UNUSED_PAD src0_sel:BYTE_0 src1_sel:DWORD
	v_lshlrev_b32_e32 v34, 3, v34
	global_load_dwordx2 v[72:73], v34, s[4:5] offset:32
	global_load_dwordx4 v[64:67], v34, s[4:5] offset:16
	global_load_dwordx2 v[126:127], v40, s[4:5] offset:32
	global_load_dwordx4 v[92:95], v34, s[4:5]
	s_mov_b32 s6, 0x5040100
	s_movk_i32 s3, 0x1e0
	v_mov_b32_e32 v34, 3
	v_perm_b32 v20, v21, v20, s6
	v_mul_u32_u24_e32 v31, 0x1e0, v31
	v_lshlrev_b32_sdwa v32, v34, v32 dst_sel:DWORD dst_unused:UNUSED_PAD src0_sel:DWORD src1_sel:BYTE_0
	v_pk_mul_lo_u16 v20, v20, s3 op_sel_hi:[1,0]
	v_add3_u32 v109, 0, v31, v32
	v_mul_u32_u24_e32 v31, 0x1e0, v35
	v_lshlrev_b32_sdwa v32, v34, v36 dst_sel:DWORD dst_unused:UNUSED_PAD src0_sel:DWORD src1_sel:BYTE_0
	v_and_b32_e32 v21, 0xffe0, v20
	v_lshlrev_b32_e32 v23, 3, v23
	ds_read2_b64 v[48:51], v107 offset0:88 offset1:148
	ds_read2_b64 v[68:71], v101 offset0:192 offset1:252
	;; [unrolled: 1-line block ×4, first 2 shown]
	v_add3_u32 v138, 0, v31, v32
	v_mul_u32_u24_e32 v31, 0x1e0, v38
	v_lshlrev_b32_sdwa v32, v34, v39 dst_sel:DWORD dst_unused:UNUSED_PAD src0_sel:DWORD src1_sel:BYTE_0
	v_add3_u32 v141, 0, v21, v23
	v_lshrrev_b32_e32 v20, 16, v20
	v_lshlrev_b32_e32 v21, 3, v22
	v_add3_u32 v139, 0, v31, v32
	v_mul_u32_u24_e32 v30, 0x1e0, v30
	v_lshlrev_b32_sdwa v31, v34, v41 dst_sel:DWORD dst_unused:UNUSED_PAD src0_sel:DWORD src1_sel:BYTE_0
	v_add3_u32 v57, 0, v20, v21
	v_add3_u32 v140, 0, v30, v31
	v_add_u32_e32 v75, 0x3c00, v100
	ds_read2_b64 v[114:117], v75 offset0:120 offset1:180
	s_mov_b32 s6, 0x3f5db3d7
	s_mov_b32 s8, 0.5
	s_mov_b32 s9, s6
	s_mov_b32 s3, s6
	s_movk_i32 s10, 0x89
	ds_read_b64 v[38:39], v81
	s_waitcnt vmcnt(17) lgkmcnt(5)
	v_pk_mul_f32 v[20:21], v[50:51], v[12:13] op_sel:[0,1]
	s_nop 0
	v_pk_fma_f32 v[30:31], v[50:51], v[12:13], v[20:21] op_sel:[0,0,1] op_sel_hi:[1,0,0]
	v_pk_fma_f32 v[20:21], v[50:51], v[12:13], v[20:21] op_sel:[0,0,1] op_sel_hi:[1,0,0] neg_lo:[0,0,1] neg_hi:[0,0,1]
	v_mov_b32_e32 v12, v15
	s_waitcnt lgkmcnt(4)
	v_pk_mul_f32 v[12:13], v[70:71], v[12:13] op_sel_hi:[1,0]
	v_mov_b32_e32 v31, v21
	v_pk_fma_f32 v[22:23], v[70:71], v[14:15], v[12:13] op_sel:[0,0,1] op_sel_hi:[1,1,0]
	v_pk_fma_f32 v[12:13], v[70:71], v[14:15], v[12:13] op_sel:[0,0,1] op_sel_hi:[1,0,0] neg_lo:[0,0,1] neg_hi:[0,0,1]
	v_mov_b32_e32 v20, v30
	v_mov_b32_e32 v23, v13
	s_waitcnt vmcnt(14) lgkmcnt(3)
	v_pk_mul_f32 v[12:13], v[98:99], v[24:25] op_sel:[0,1]
	v_add_u32_e32 v71, 0xc00, v100
	v_pk_fma_f32 v[14:15], v[98:99], v[24:25], v[12:13] op_sel:[0,0,1] op_sel_hi:[1,1,0]
	v_pk_fma_f32 v[12:13], v[98:99], v[24:25], v[12:13] op_sel:[0,0,1] op_sel_hi:[1,0,0] neg_lo:[0,0,1] neg_hi:[0,0,1]
	s_nop 0
	v_mov_b32_e32 v12, v27
	v_mov_b32_e32 v15, v13
	s_waitcnt lgkmcnt(2)
	v_pk_mul_f32 v[12:13], v[112:113], v[12:13] op_sel_hi:[1,0]
	s_nop 0
	v_pk_fma_f32 v[24:25], v[112:113], v[26:27], v[12:13] op_sel:[0,0,1] op_sel_hi:[1,1,0]
	v_pk_fma_f32 v[12:13], v[112:113], v[26:27], v[12:13] op_sel:[0,0,1] op_sel_hi:[1,0,0] neg_lo:[0,0,1] neg_hi:[0,0,1]
	ds_read_b64 v[26:27], v85
	v_mov_b32_e32 v25, v13
	s_waitcnt lgkmcnt(2)
	v_pk_mul_f32 v[12:13], v[116:117], v[28:29] op_sel:[0,1]
	s_nop 0
	v_pk_fma_f32 v[34:35], v[116:117], v[28:29], v[12:13] op_sel:[0,0,1] op_sel_hi:[1,1,0]
	v_pk_fma_f32 v[12:13], v[116:117], v[28:29], v[12:13] op_sel:[0,0,1] op_sel_hi:[1,0,0] neg_lo:[0,0,1] neg_hi:[0,0,1]
	s_nop 0
	v_mov_b32_e32 v35, v13
	s_waitcnt lgkmcnt(0)
	v_pk_add_f32 v[12:13], v[26:27], v[22:23]
	v_pk_add_f32 v[40:41], v[14:15], v[34:35] neg_lo:[0,1] neg_hi:[0,1]
	v_pk_add_f32 v[28:29], v[12:13], v[24:25]
	v_pk_add_f32 v[12:13], v[14:15], v[34:35]
	;; [unrolled: 1-line block ×3, first 2 shown]
	v_fmac_f32_e32 v20, -0.5, v12
	v_fmac_f32_e32 v21, -0.5, v13
	s_waitcnt vmcnt(4)
	v_pk_mul_f32 v[12:13], v[48:49], v[42:43] op_sel:[0,1]
	v_fmamk_f32 v32, v41, 0xbf5db3d7, v20
	v_fmac_f32_e32 v20, 0x3f5db3d7, v41
	v_pk_add_f32 v[30:31], v[14:15], v[34:35]
	v_fmamk_f32 v36, v40, 0x3f5db3d7, v21
	v_fmac_f32_e32 v21, 0xbf5db3d7, v40
	v_pk_fma_f32 v[14:15], v[48:49], v[42:43], v[12:13] op_sel:[0,0,1] op_sel_hi:[1,0,0]
	v_pk_fma_f32 v[40:41], v[48:49], v[42:43], v[12:13] op_sel:[0,0,1] op_sel_hi:[1,0,0] neg_lo:[0,0,1] neg_hi:[0,0,1]
	v_mov_b32_e32 v12, v45
	v_pk_mul_f32 v[12:13], v[68:69], v[12:13] op_sel_hi:[1,0]
	v_mov_b32_e32 v15, v41
	v_pk_fma_f32 v[42:43], v[68:69], v[44:45], v[12:13] op_sel:[0,0,1] op_sel_hi:[1,1,0]
	v_pk_fma_f32 v[12:13], v[68:69], v[44:45], v[12:13] op_sel:[0,0,1] op_sel_hi:[1,0,0] neg_lo:[0,0,1] neg_hi:[0,0,1]
	v_mov_b32_e32 v40, v14
	v_mov_b32_e32 v43, v13
	v_pk_mul_f32 v[12:13], v[96:97], v[60:61] op_sel:[0,1]
	v_pk_add_f32 v[34:35], v[28:29], v[30:31]
	v_pk_fma_f32 v[48:49], v[96:97], v[60:61], v[12:13] op_sel:[0,0,1] op_sel_hi:[1,1,0]
	v_pk_fma_f32 v[12:13], v[96:97], v[60:61], v[12:13] op_sel:[0,0,1] op_sel_hi:[1,0,0] neg_lo:[0,0,1] neg_hi:[0,0,1]
	s_nop 0
	v_mov_b32_e32 v12, v63
	v_mov_b32_e32 v49, v13
	v_pk_mul_f32 v[12:13], v[110:111], v[12:13] op_sel_hi:[1,0]
	v_pk_add_f32 v[14:15], v[14:15], v[48:49]
	v_pk_fma_f32 v[50:51], v[110:111], v[62:63], v[12:13] op_sel:[0,0,1] op_sel_hi:[1,1,0]
	v_pk_fma_f32 v[12:13], v[110:111], v[62:63], v[12:13] op_sel:[0,0,1] op_sel_hi:[1,0,0] neg_lo:[0,0,1] neg_hi:[0,0,1]
	s_nop 0
	v_mov_b32_e32 v51, v13
	v_pk_mul_f32 v[12:13], v[114:115], v[54:55] op_sel:[0,1]
	s_nop 0
	v_pk_fma_f32 v[60:61], v[114:115], v[54:55], v[12:13] op_sel:[0,0,1] op_sel_hi:[1,1,0]
	v_pk_fma_f32 v[12:13], v[114:115], v[54:55], v[12:13] op_sel:[0,0,1] op_sel_hi:[1,0,0] neg_lo:[0,0,1] neg_hi:[0,0,1]
	s_nop 0
	v_mov_b32_e32 v61, v13
	v_pk_add_f32 v[12:13], v[38:39], v[42:43]
	v_pk_add_f32 v[54:55], v[48:49], v[60:61] neg_lo:[0,1] neg_hi:[0,1]
	v_pk_add_f32 v[44:45], v[12:13], v[50:51]
	v_pk_add_f32 v[12:13], v[48:49], v[60:61]
	;; [unrolled: 1-line block ×3, first 2 shown]
	v_fmac_f32_e32 v40, -0.5, v12
	v_fmac_f32_e32 v41, -0.5, v13
	ds_read2_b64 v[12:15], v100 offset0:120 offset1:180
	ds_read2_b64 v[96:99], v71 offset0:96 offset1:156
	;; [unrolled: 1-line block ×6, first 2 shown]
	s_waitcnt vmcnt(0) lgkmcnt(4)
	v_pk_mul_f32 v[60:61], v[98:99], v[92:93] op_sel:[0,1]
	v_fmamk_f32 v56, v54, 0x3f5db3d7, v41
	v_pk_fma_f32 v[128:129], v[98:99], v[92:93], v[60:61] op_sel:[0,0,1] op_sel_hi:[1,0,0]
	v_pk_fma_f32 v[60:61], v[98:99], v[92:93], v[60:61] op_sel:[0,0,1] op_sel_hi:[1,0,0] neg_lo:[0,0,1] neg_hi:[0,0,1]
	v_fmamk_f32 v52, v55, 0xbf5db3d7, v40
	v_mov_b32_e32 v60, v95
	s_waitcnt lgkmcnt(3)
	v_pk_mul_f32 v[68:69], v[112:113], v[60:61] op_sel_hi:[1,0]
	v_mov_b32_e32 v60, v67
	v_pk_fma_f32 v[62:63], v[112:113], v[94:95], v[68:69] op_sel:[0,0,1] op_sel_hi:[1,1,0]
	v_pk_fma_f32 v[68:69], v[112:113], v[94:95], v[68:69] op_sel:[0,0,1] op_sel_hi:[1,0,0] neg_lo:[0,0,1] neg_hi:[0,0,1]
	v_mov_b32_e32 v129, v61
	v_mov_b32_e32 v63, v69
	s_waitcnt lgkmcnt(2)
	v_pk_mul_f32 v[68:69], v[116:117], v[64:65] op_sel:[0,1]
	v_fmac_f32_e32 v41, 0xbf5db3d7, v54
	v_pk_fma_f32 v[92:93], v[116:117], v[64:65], v[68:69] op_sel:[0,0,1] op_sel_hi:[1,1,0]
	v_pk_fma_f32 v[64:65], v[116:117], v[64:65], v[68:69] op_sel:[0,0,1] op_sel_hi:[1,0,0] neg_lo:[0,0,1] neg_hi:[0,0,1]
	v_fmac_f32_e32 v40, 0x3f5db3d7, v55
	v_mov_b32_e32 v93, v65
	s_waitcnt lgkmcnt(1)
	v_pk_mul_f32 v[64:65], v[120:121], v[60:61] op_sel_hi:[1,0]
	v_mov_b32_e32 v60, v128
	v_pk_fma_f32 v[68:69], v[120:121], v[66:67], v[64:65] op_sel:[0,0,1] op_sel_hi:[1,1,0]
	v_pk_fma_f32 v[64:65], v[120:121], v[66:67], v[64:65] op_sel:[0,0,1] op_sel_hi:[1,0,0] neg_lo:[0,0,1] neg_hi:[0,0,1]
	v_pk_add_f32 v[54:55], v[44:45], v[48:49]
	v_mov_b32_e32 v69, v65
	s_waitcnt lgkmcnt(0)
	v_pk_mul_f32 v[64:65], v[124:125], v[72:73] op_sel:[0,1]
	s_nop 0
	v_pk_fma_f32 v[66:67], v[124:125], v[72:73], v[64:65] op_sel:[0,0,1] op_sel_hi:[1,1,0]
	v_pk_fma_f32 v[64:65], v[124:125], v[72:73], v[64:65] op_sel:[0,0,1] op_sel_hi:[1,0,0] neg_lo:[0,0,1] neg_hi:[0,0,1]
	s_nop 0
	v_mov_b32_e32 v67, v65
	v_pk_add_f32 v[72:73], v[92:93], v[66:67]
	v_pk_add_f32 v[94:95], v[92:93], v[66:67] neg_lo:[0,1] neg_hi:[0,1]
	v_pk_add_f32 v[92:93], v[128:129], v[92:93]
	v_fmac_f32_e32 v60, -0.5, v72
	v_pk_add_f32 v[66:67], v[92:93], v[66:67]
	v_fmac_f32_e32 v61, -0.5, v73
	v_pk_mul_f32 v[92:93], v[96:97], v[88:89] op_sel:[0,1]
	v_fmamk_f32 v70, v95, 0xbf5db3d7, v60
	v_fmac_f32_e32 v60, 0x3f5db3d7, v95
	v_fmamk_f32 v74, v94, 0x3f5db3d7, v61
	v_fmac_f32_e32 v61, 0xbf5db3d7, v94
	v_pk_fma_f32 v[94:95], v[96:97], v[88:89], v[92:93] op_sel:[0,0,1] op_sel_hi:[1,0,0]
	v_pk_fma_f32 v[120:121], v[96:97], v[88:89], v[92:93] op_sel:[0,0,1] op_sel_hi:[1,0,0] neg_lo:[0,0,1] neg_hi:[0,0,1]
	v_mov_b32_e32 v88, v91
	v_pk_mul_f32 v[88:89], v[110:111], v[88:89] op_sel_hi:[1,0]
	v_mov_b32_e32 v95, v121
	v_pk_fma_f32 v[124:125], v[110:111], v[90:91], v[88:89] op_sel:[0,0,1] op_sel_hi:[1,1,0]
	v_pk_fma_f32 v[88:89], v[110:111], v[90:91], v[88:89] op_sel:[0,0,1] op_sel_hi:[1,0,0] neg_lo:[0,0,1] neg_hi:[0,0,1]
	v_mov_b32_e32 v120, v94
	v_mov_b32_e32 v125, v89
	v_pk_mul_f32 v[88:89], v[114:115], v[76:77] op_sel:[0,1]
	v_pk_add_f32 v[64:65], v[14:15], v[62:63]
	v_pk_fma_f32 v[90:91], v[114:115], v[76:77], v[88:89] op_sel:[0,0,1] op_sel_hi:[1,1,0]
	v_pk_fma_f32 v[76:77], v[114:115], v[76:77], v[88:89] op_sel:[0,0,1] op_sel_hi:[1,0,0] neg_lo:[0,0,1] neg_hi:[0,0,1]
	v_pk_add_f32 v[64:65], v[64:65], v[68:69]
	v_mov_b32_e32 v76, v79
	v_mov_b32_e32 v91, v77
	v_pk_mul_f32 v[76:77], v[118:119], v[76:77] op_sel_hi:[1,0]
	v_pk_add_f32 v[72:73], v[64:65], v[66:67]
	v_pk_fma_f32 v[128:129], v[118:119], v[78:79], v[76:77] op_sel:[0,0,1] op_sel_hi:[1,1,0]
	v_pk_fma_f32 v[76:77], v[118:119], v[78:79], v[76:77] op_sel:[0,0,1] op_sel_hi:[1,0,0] neg_lo:[0,0,1] neg_hi:[0,0,1]
	s_nop 0
	v_mov_b32_e32 v129, v77
	v_pk_mul_f32 v[76:77], v[122:123], v[126:127] op_sel:[0,1]
	s_nop 0
	v_pk_fma_f32 v[78:79], v[122:123], v[126:127], v[76:77] op_sel:[0,0,1] op_sel_hi:[1,1,0]
	v_pk_fma_f32 v[76:77], v[122:123], v[126:127], v[76:77] op_sel:[0,0,1] op_sel_hi:[1,0,0] neg_lo:[0,0,1] neg_hi:[0,0,1]
	s_nop 0
	v_mov_b32_e32 v79, v77
	v_pk_add_f32 v[76:77], v[12:13], v[124:125]
	v_pk_add_f32 v[88:89], v[90:91], v[78:79] neg_lo:[0,1] neg_hi:[0,1]
	v_pk_add_f32 v[118:119], v[76:77], v[128:129]
	v_pk_add_f32 v[76:77], v[90:91], v[78:79]
	;; [unrolled: 1-line block ×3, first 2 shown]
	v_fmac_f32_e32 v120, -0.5, v76
	v_fmac_f32_e32 v121, -0.5, v77
	v_fmamk_f32 v122, v89, 0xbf5db3d7, v120
	v_fmac_f32_e32 v120, 0x3f5db3d7, v89
	v_pk_add_f32 v[78:79], v[90:91], v[78:79]
	v_fmamk_f32 v126, v88, 0x3f5db3d7, v121
	v_fmac_f32_e32 v121, 0xbf5db3d7, v88
	ds_read2_b64 v[88:91], v100 offset1:60
	ds_read2_b64 v[92:95], v105 offset0:104 offset1:164
	v_add_u32_e32 v76, 0x1400, v100
	ds_read2_b64 v[96:99], v76 offset0:80 offset1:140
	ds_read2_b64 v[110:113], v102 offset0:56 offset1:116
	;; [unrolled: 1-line block ×3, first 2 shown]
	v_pk_add_f32 v[130:131], v[118:119], v[78:79]
	s_waitcnt lgkmcnt(3)
	v_pk_mul_f32 v[132:133], v[94:95], v[16:17] op_sel:[0,1]
	s_nop 0
	v_pk_fma_f32 v[134:135], v[94:95], v[16:17], v[132:133] op_sel:[0,0,1] op_sel_hi:[1,0,0]
	v_pk_fma_f32 v[16:17], v[94:95], v[16:17], v[132:133] op_sel:[0,0,1] op_sel_hi:[1,0,0] neg_lo:[0,0,1] neg_hi:[0,0,1]
	s_nop 0
	v_mov_b32_e32 v16, v19
	s_waitcnt lgkmcnt(2)
	v_pk_mul_f32 v[94:95], v[98:99], v[16:17] op_sel_hi:[1,0]
	v_mov_b32_e32 v135, v17
	v_pk_fma_f32 v[132:133], v[98:99], v[18:19], v[94:95] op_sel:[0,0,1] op_sel_hi:[1,1,0]
	v_pk_fma_f32 v[18:19], v[98:99], v[18:19], v[94:95] op_sel:[0,0,1] op_sel_hi:[1,0,0] neg_lo:[0,0,1] neg_hi:[0,0,1]
	s_nop 0
	v_mov_b32_e32 v133, v19
	s_waitcnt lgkmcnt(1)
	v_pk_mul_f32 v[18:19], v[112:113], v[8:9] op_sel:[0,1]
	s_nop 0
	v_pk_fma_f32 v[94:95], v[112:113], v[8:9], v[18:19] op_sel:[0,0,1] op_sel_hi:[1,1,0]
	v_pk_fma_f32 v[8:9], v[112:113], v[8:9], v[18:19] op_sel:[0,0,1] op_sel_hi:[1,0,0] neg_lo:[0,0,1] neg_hi:[0,0,1]
	s_nop 0
	v_mov_b32_e32 v8, v11
	v_mov_b32_e32 v95, v9
	s_waitcnt lgkmcnt(0)
	v_pk_mul_f32 v[8:9], v[116:117], v[8:9] op_sel_hi:[1,0]
	v_pk_add_f32 v[112:113], v[134:135], v[94:95]
	v_pk_fma_f32 v[18:19], v[116:117], v[10:11], v[8:9] op_sel:[0,0,1] op_sel_hi:[1,1,0]
	v_pk_fma_f32 v[8:9], v[116:117], v[10:11], v[8:9] op_sel:[0,0,1] op_sel_hi:[1,0,0] neg_lo:[0,0,1] neg_hi:[0,0,1]
	v_pk_mul_f32 v[116:117], v[92:93], v[4:5] op_sel:[0,1]
	v_mov_b32_e32 v19, v9
	v_pk_fma_f32 v[136:137], v[92:93], v[4:5], v[116:117] op_sel:[0,0,1] op_sel_hi:[1,0,0]
	v_pk_fma_f32 v[4:5], v[92:93], v[4:5], v[116:117] op_sel:[0,0,1] op_sel_hi:[1,0,0] neg_lo:[0,0,1] neg_hi:[0,0,1]
	v_pk_add_f32 v[8:9], v[90:91], v[132:133]
	v_mov_b32_e32 v4, v7
	v_pk_mul_f32 v[92:93], v[96:97], v[4:5] op_sel_hi:[1,0]
	v_pk_add_f32 v[98:99], v[8:9], v[18:19]
	v_pk_fma_f32 v[116:117], v[96:97], v[6:7], v[92:93] op_sel:[0,0,1] op_sel_hi:[1,1,0]
	v_pk_fma_f32 v[6:7], v[96:97], v[6:7], v[92:93] op_sel:[0,0,1] op_sel_hi:[1,0,0] neg_lo:[0,0,1] neg_hi:[0,0,1]
	ds_read2_b64 v[8:11], v104 offset0:8 offset1:68
	v_mov_b32_e32 v117, v7
	v_pk_mul_f32 v[6:7], v[110:111], v[0:1] op_sel:[0,1]
	v_mov_b32_e32 v137, v5
	v_pk_fma_f32 v[92:93], v[110:111], v[0:1], v[6:7] op_sel:[0,0,1] op_sel_hi:[1,1,0]
	v_pk_fma_f32 v[0:1], v[110:111], v[0:1], v[6:7] op_sel:[0,0,1] op_sel_hi:[1,0,0] neg_lo:[0,0,1] neg_hi:[0,0,1]
	v_mov_b32_e32 v4, v136
	v_mov_b32_e32 v0, v3
	;; [unrolled: 1-line block ×3, first 2 shown]
	v_pk_mul_f32 v[0:1], v[114:115], v[0:1] op_sel_hi:[1,0]
	s_waitcnt lgkmcnt(0)
	v_pk_fma_f32 v[6:7], v[114:115], v[2:3], v[0:1] op_sel:[0,0,1] op_sel_hi:[1,1,0]
	v_pk_fma_f32 v[0:1], v[114:115], v[2:3], v[0:1] op_sel:[0,0,1] op_sel_hi:[1,0,0] neg_lo:[0,0,1] neg_hi:[0,0,1]
	; wave barrier
	s_nop 0
	v_mov_b32_e32 v7, v1
	v_pk_mul_f32 v[0:1], v[8:9], v[58:59] op_sel:[0,1]
	s_nop 0
	v_pk_fma_f32 v[2:3], v[8:9], v[58:59], v[0:1] op_sel:[0,0,1] op_sel_hi:[1,1,0]
	v_pk_fma_f32 v[0:1], v[8:9], v[58:59], v[0:1] op_sel:[0,0,1] op_sel_hi:[1,0,0] neg_lo:[0,0,1] neg_hi:[0,0,1]
	s_nop 0
	v_mov_b32_e32 v3, v1
	v_pk_add_f32 v[8:9], v[92:93], v[2:3]
	v_pk_add_f32 v[58:59], v[92:93], v[2:3] neg_lo:[0,1] neg_hi:[0,1]
	v_pk_add_f32 v[92:93], v[136:137], v[92:93]
	v_pk_add_f32 v[0:1], v[88:89], v[116:117]
	;; [unrolled: 1-line block ×3, first 2 shown]
	v_pk_mul_f32 v[92:93], v[10:11], v[46:47] op_sel:[0,1]
	v_pk_add_f32 v[0:1], v[0:1], v[6:7]
	v_pk_fma_f32 v[96:97], v[10:11], v[46:47], v[92:93] op_sel:[0,0,1] op_sel_hi:[1,1,0]
	v_pk_fma_f32 v[10:11], v[10:11], v[46:47], v[92:93] op_sel:[0,0,1] op_sel_hi:[1,0,0] neg_lo:[0,0,1] neg_hi:[0,0,1]
	v_fmac_f32_e32 v5, -0.5, v9
	v_mov_b32_e32 v97, v11
	v_pk_add_f32 v[10:11], v[94:95], v[96:97]
	v_pk_add_f32 v[46:47], v[94:95], v[96:97] neg_lo:[0,1] neg_hi:[0,1]
	v_pk_add_f32 v[92:93], v[112:113], v[96:97]
	v_fmac_f32_e32 v17, -0.5, v11
	v_pk_add_f32 v[96:97], v[116:117], v[6:7]
	v_pk_add_f32 v[6:7], v[116:117], v[6:7] neg_lo:[0,1] neg_hi:[0,1]
	v_fmac_f32_e32 v4, -0.5, v8
	v_fmamk_f32 v16, v58, 0x3f5db3d7, v5
	v_fmamk_f32 v94, v46, 0x3f5db3d7, v17
	v_fmac_f32_e32 v17, 0xbf5db3d7, v46
	v_pk_mul_f32 v[6:7], v[6:7], s[6:7] op_sel_hi:[1,0]
	s_mov_b32 s7, s8
	v_fmamk_f32 v8, v59, 0xbf5db3d7, v4
	v_pk_fma_f32 v[88:89], v[96:97], 0.5, v[88:89] op_sel_hi:[1,0,1] neg_lo:[1,0,0] neg_hi:[1,0,0]
	v_pk_mul_f32 v[110:111], v[16:17], s[6:7] op_sel_hi:[0,1]
	v_pk_add_f32 v[96:97], v[88:89], v[6:7] op_sel:[0,1] op_sel_hi:[1,0] neg_lo:[0,1] neg_hi:[0,1]
	v_pk_add_f32 v[6:7], v[88:89], v[6:7] op_sel:[0,1] op_sel_hi:[1,0]
	v_pk_fma_f32 v[112:113], v[8:9], s[8:9], v[110:111] neg_lo:[0,0,1] neg_hi:[0,0,1]
	v_pk_fma_f32 v[8:9], v[8:9], s[8:9], v[110:111] op_sel_hi:[0,1,1]
	v_mov_b32_e32 v88, v96
	v_mov_b32_e32 v89, v7
	;; [unrolled: 1-line block ×3, first 2 shown]
	v_fmac_f32_e32 v4, 0x3f5db3d7, v59
	v_fmac_f32_e32 v5, 0xbf5db3d7, v58
	v_pk_add_f32 v[58:59], v[0:1], v[2:3]
	v_pk_add_f32 v[8:9], v[88:89], v[112:113]
	ds_write2_b64 v109, v[58:59], v[8:9] offset1:10
	v_mov_b32_e32 v8, v5
	v_pk_mul_f32 v[8:9], v[8:9], s[6:7] op_sel_hi:[0,1]
	v_pk_fma_f32 v[4:5], v[4:5], s[2:3], v[8:9] op_sel_hi:[0,1,1] neg_lo:[0,0,1] neg_hi:[0,0,1]
	v_mov_b32_e32 v7, v97
	v_pk_add_f32 v[8:9], v[6:7], v[4:5]
	v_pk_add_f32 v[0:1], v[0:1], v[2:3] neg_lo:[0,1] neg_hi:[0,1]
	ds_write2_b64 v109, v[8:9], v[0:1] offset0:20 offset1:30
	v_pk_add_f32 v[0:1], v[88:89], v[112:113] neg_lo:[0,1] neg_hi:[0,1]
	v_pk_add_f32 v[2:3], v[6:7], v[4:5] neg_lo:[0,1] neg_hi:[0,1]
	v_fmac_f32_e32 v134, -0.5, v10
	ds_write2_b64 v109, v[0:1], v[2:3] offset0:40 offset1:50
	v_pk_add_f32 v[0:1], v[132:133], v[18:19]
	v_pk_add_f32 v[2:3], v[132:133], v[18:19] neg_lo:[0,1] neg_hi:[0,1]
	v_fmamk_f32 v10, v47, 0xbf5db3d7, v134
	v_pk_fma_f32 v[0:1], v[0:1], 0.5, v[90:91] op_sel_hi:[1,0,1] neg_lo:[1,0,0] neg_hi:[1,0,0]
	v_pk_mul_f32 v[2:3], v[2:3], s[6:7] op_sel_hi:[1,0]
	v_pk_mul_f32 v[6:7], v[94:95], s[6:7] op_sel_hi:[0,1]
	v_pk_add_f32 v[4:5], v[0:1], v[2:3] op_sel:[0,1] op_sel_hi:[1,0] neg_lo:[0,1] neg_hi:[0,1]
	v_pk_add_f32 v[0:1], v[0:1], v[2:3] op_sel:[0,1] op_sel_hi:[1,0]
	v_pk_fma_f32 v[8:9], v[10:11], s[8:9], v[6:7] neg_lo:[0,0,1] neg_hi:[0,0,1]
	v_pk_fma_f32 v[6:7], v[10:11], s[8:9], v[6:7] op_sel_hi:[0,1,1]
	v_mov_b32_e32 v2, v4
	v_mov_b32_e32 v3, v1
	;; [unrolled: 1-line block ×3, first 2 shown]
	v_fmac_f32_e32 v134, 0x3f5db3d7, v47
	v_pk_add_f32 v[46:47], v[98:99], v[92:93]
	v_pk_add_f32 v[6:7], v[2:3], v[8:9]
	v_mov_b32_e32 v4, v17
	ds_write2_b64 v138, v[46:47], v[6:7] offset1:10
	v_pk_mul_f32 v[6:7], v[4:5], s[6:7] op_sel_hi:[0,1]
	v_pk_fma_f32 v[6:7], v[134:135], s[2:3], v[6:7] op_sel_hi:[0,1,1] neg_lo:[0,0,1] neg_hi:[0,0,1]
	v_mov_b32_e32 v1, v5
	v_pk_add_f32 v[4:5], v[0:1], v[6:7]
	v_pk_add_f32 v[2:3], v[2:3], v[8:9] neg_lo:[0,1] neg_hi:[0,1]
	v_pk_add_f32 v[0:1], v[0:1], v[6:7] neg_lo:[0,1] neg_hi:[0,1]
	ds_write2_b64 v138, v[2:3], v[0:1] offset0:40 offset1:50
	v_pk_add_f32 v[0:1], v[124:125], v[128:129]
	v_pk_add_f32 v[2:3], v[124:125], v[128:129] neg_lo:[0,1] neg_hi:[0,1]
	v_pk_add_f32 v[10:11], v[98:99], v[92:93] neg_lo:[0,1] neg_hi:[0,1]
	v_pk_fma_f32 v[0:1], v[0:1], 0.5, v[12:13] op_sel_hi:[1,0,1] neg_lo:[1,0,0] neg_hi:[1,0,0]
	v_pk_mul_f32 v[2:3], v[2:3], s[6:7] op_sel_hi:[1,0]
	v_pk_mul_f32 v[6:7], v[126:127], s[6:7] op_sel_hi:[0,1]
	ds_write2_b64 v138, v[4:5], v[10:11] offset0:20 offset1:30
	v_pk_add_f32 v[4:5], v[0:1], v[2:3] op_sel:[0,1] op_sel_hi:[1,0] neg_lo:[0,1] neg_hi:[0,1]
	v_pk_add_f32 v[0:1], v[0:1], v[2:3] op_sel:[0,1] op_sel_hi:[1,0]
	v_pk_fma_f32 v[8:9], v[122:123], s[8:9], v[6:7] neg_lo:[0,0,1] neg_hi:[0,0,1]
	v_pk_fma_f32 v[6:7], v[122:123], s[8:9], v[6:7] op_sel_hi:[0,1,1]
	v_mov_b32_e32 v2, v4
	v_mov_b32_e32 v3, v1
	v_mov_b32_e32 v9, v7
	v_pk_add_f32 v[6:7], v[2:3], v[8:9]
	v_mov_b32_e32 v4, v121
	ds_write2_b64 v139, v[130:131], v[6:7] offset1:10
	v_pk_mul_f32 v[6:7], v[4:5], s[6:7] op_sel_hi:[0,1]
	v_pk_fma_f32 v[6:7], v[120:121], s[2:3], v[6:7] op_sel_hi:[0,1,1] neg_lo:[0,0,1] neg_hi:[0,0,1]
	v_mov_b32_e32 v1, v5
	v_pk_add_f32 v[4:5], v[0:1], v[6:7]
	v_pk_add_f32 v[2:3], v[2:3], v[8:9] neg_lo:[0,1] neg_hi:[0,1]
	v_pk_add_f32 v[0:1], v[0:1], v[6:7] neg_lo:[0,1] neg_hi:[0,1]
	ds_write2_b64 v139, v[2:3], v[0:1] offset0:40 offset1:50
	v_pk_add_f32 v[0:1], v[62:63], v[68:69]
	v_pk_add_f32 v[2:3], v[62:63], v[68:69] neg_lo:[0,1] neg_hi:[0,1]
	v_pk_add_f32 v[10:11], v[118:119], v[78:79] neg_lo:[0,1] neg_hi:[0,1]
	v_pk_fma_f32 v[0:1], v[0:1], 0.5, v[14:15] op_sel_hi:[1,0,1] neg_lo:[1,0,0] neg_hi:[1,0,0]
	v_pk_mul_f32 v[2:3], v[2:3], s[6:7] op_sel_hi:[1,0]
	v_pk_mul_f32 v[6:7], v[74:75], s[6:7] op_sel_hi:[0,1]
	ds_write2_b64 v139, v[4:5], v[10:11] offset0:20 offset1:30
	v_pk_add_f32 v[4:5], v[0:1], v[2:3] op_sel:[0,1] op_sel_hi:[1,0] neg_lo:[0,1] neg_hi:[0,1]
	v_pk_add_f32 v[0:1], v[0:1], v[2:3] op_sel:[0,1] op_sel_hi:[1,0]
	v_pk_fma_f32 v[8:9], v[70:71], s[8:9], v[6:7] neg_lo:[0,0,1] neg_hi:[0,0,1]
	v_pk_fma_f32 v[6:7], v[70:71], s[8:9], v[6:7] op_sel_hi:[0,1,1]
	v_mov_b32_e32 v2, v4
	v_mov_b32_e32 v3, v1
	v_mov_b32_e32 v9, v7
	v_pk_add_f32 v[6:7], v[2:3], v[8:9]
	v_mov_b32_e32 v4, v61
	ds_write2_b64 v140, v[72:73], v[6:7] offset1:10
	v_pk_mul_f32 v[6:7], v[4:5], s[6:7] op_sel_hi:[0,1]
	v_pk_fma_f32 v[6:7], v[60:61], s[2:3], v[6:7] op_sel_hi:[0,1,1] neg_lo:[0,0,1] neg_hi:[0,0,1]
	v_mov_b32_e32 v1, v5
	v_pk_add_f32 v[4:5], v[0:1], v[6:7]
	v_pk_add_f32 v[2:3], v[2:3], v[8:9] neg_lo:[0,1] neg_hi:[0,1]
	v_pk_add_f32 v[0:1], v[0:1], v[6:7] neg_lo:[0,1] neg_hi:[0,1]
	ds_write2_b64 v140, v[2:3], v[0:1] offset0:40 offset1:50
	v_pk_add_f32 v[0:1], v[42:43], v[50:51]
	v_pk_add_f32 v[2:3], v[42:43], v[50:51] neg_lo:[0,1] neg_hi:[0,1]
	v_pk_add_f32 v[10:11], v[64:65], v[66:67] neg_lo:[0,1] neg_hi:[0,1]
	v_pk_fma_f32 v[0:1], v[0:1], 0.5, v[38:39] op_sel_hi:[1,0,1] neg_lo:[1,0,0] neg_hi:[1,0,0]
	v_pk_mul_f32 v[2:3], v[2:3], s[6:7] op_sel_hi:[1,0]
	v_pk_mul_f32 v[6:7], v[56:57], s[6:7] op_sel_hi:[0,1]
	ds_write2_b64 v140, v[4:5], v[10:11] offset0:20 offset1:30
	v_pk_add_f32 v[4:5], v[0:1], v[2:3] op_sel:[0,1] op_sel_hi:[1,0] neg_lo:[0,1] neg_hi:[0,1]
	v_pk_add_f32 v[0:1], v[0:1], v[2:3] op_sel:[0,1] op_sel_hi:[1,0]
	v_pk_fma_f32 v[8:9], v[52:53], s[8:9], v[6:7] neg_lo:[0,0,1] neg_hi:[0,0,1]
	v_pk_fma_f32 v[6:7], v[52:53], s[8:9], v[6:7] op_sel_hi:[0,1,1]
	v_mov_b32_e32 v2, v4
	v_mov_b32_e32 v3, v1
	v_mov_b32_e32 v9, v7
	v_pk_add_f32 v[6:7], v[2:3], v[8:9]
	v_mov_b32_e32 v4, v41
	ds_write2_b64 v141, v[54:55], v[6:7] offset1:10
	v_pk_mul_f32 v[6:7], v[4:5], s[6:7] op_sel_hi:[0,1]
	v_pk_fma_f32 v[6:7], v[40:41], s[2:3], v[6:7] op_sel_hi:[0,1,1] neg_lo:[0,0,1] neg_hi:[0,0,1]
	v_mov_b32_e32 v1, v5
	v_pk_add_f32 v[4:5], v[0:1], v[6:7]
	v_pk_add_f32 v[2:3], v[2:3], v[8:9] neg_lo:[0,1] neg_hi:[0,1]
	v_pk_add_f32 v[0:1], v[0:1], v[6:7] neg_lo:[0,1] neg_hi:[0,1]
	ds_write2_b64 v141, v[2:3], v[0:1] offset0:40 offset1:50
	v_pk_add_f32 v[0:1], v[22:23], v[24:25]
	v_pk_add_f32 v[2:3], v[22:23], v[24:25] neg_lo:[0,1] neg_hi:[0,1]
	v_pk_add_f32 v[10:11], v[44:45], v[48:49] neg_lo:[0,1] neg_hi:[0,1]
	v_pk_fma_f32 v[0:1], v[0:1], 0.5, v[26:27] op_sel_hi:[1,0,1] neg_lo:[1,0,0] neg_hi:[1,0,0]
	v_pk_mul_f32 v[2:3], v[2:3], s[6:7] op_sel_hi:[1,0]
	v_pk_mul_f32 v[6:7], v[36:37], s[6:7] op_sel_hi:[0,1]
	ds_write2_b64 v141, v[4:5], v[10:11] offset0:20 offset1:30
	v_pk_add_f32 v[4:5], v[0:1], v[2:3] op_sel:[0,1] op_sel_hi:[1,0] neg_lo:[0,1] neg_hi:[0,1]
	v_pk_add_f32 v[0:1], v[0:1], v[2:3] op_sel:[0,1] op_sel_hi:[1,0]
	v_pk_fma_f32 v[8:9], v[32:33], s[8:9], v[6:7] neg_lo:[0,0,1] neg_hi:[0,0,1]
	v_pk_fma_f32 v[6:7], v[32:33], s[8:9], v[6:7] op_sel_hi:[0,1,1]
	v_mov_b32_e32 v2, v4
	v_mov_b32_e32 v3, v1
	v_mov_b32_e32 v9, v7
	v_pk_add_f32 v[6:7], v[2:3], v[8:9]
	v_mov_b32_e32 v4, v21
	ds_write2_b64 v57, v[34:35], v[6:7] offset1:10
	v_pk_mul_f32 v[6:7], v[4:5], s[6:7] op_sel_hi:[0,1]
	v_pk_fma_f32 v[6:7], v[20:21], s[2:3], v[6:7] op_sel_hi:[0,1,1] neg_lo:[0,0,1] neg_hi:[0,0,1]
	v_mov_b32_e32 v1, v5
	v_pk_add_f32 v[4:5], v[0:1], v[6:7]
	v_pk_add_f32 v[2:3], v[2:3], v[8:9] neg_lo:[0,1] neg_hi:[0,1]
	v_pk_add_f32 v[0:1], v[0:1], v[6:7] neg_lo:[0,1] neg_hi:[0,1]
	ds_write2_b64 v57, v[2:3], v[0:1] offset0:40 offset1:50
	v_mul_u32_u24_e32 v0, 5, v80
	v_pk_add_f32 v[10:11], v[28:29], v[30:31] neg_lo:[0,1] neg_hi:[0,1]
	v_lshlrev_b32_e32 v59, 3, v0
	ds_write2_b64 v57, v[4:5], v[10:11] offset0:20 offset1:30
	s_waitcnt lgkmcnt(0)
	; wave barrier
	s_waitcnt lgkmcnt(0)
	global_load_dwordx4 v[44:47], v59, s[4:5] offset:400
	global_load_dwordx4 v[48:51], v59, s[4:5] offset:416
	global_load_dwordx2 v[26:27], v59, s[4:5] offset:432
	v_mul_lo_u16_sdwa v0, v37, s10 dst_sel:DWORD dst_unused:UNUSED_PAD src0_sel:BYTE_0 src1_sel:DWORD
	v_lshrrev_b16_e32 v0, 13, v0
	v_mul_lo_u16_e32 v0, 60, v0
	v_sub_u16_e32 v0, v37, v0
	v_and_b32_e32 v70, 0xff, v0
	v_mul_u32_u24_e32 v0, 5, v70
	v_lshlrev_b32_e32 v8, 3, v0
	ds_read2_b64 v[60:63], v105 offset0:104 offset1:164
	ds_read2_b64 v[64:67], v76 offset0:80 offset1:140
	global_load_dwordx2 v[24:25], v8, s[4:5] offset:432
	global_load_dwordx4 v[0:3], v8, s[4:5] offset:416
	global_load_dwordx4 v[4:7], v8, s[4:5] offset:400
	v_mul_lo_u16_sdwa v8, v33, s10 dst_sel:DWORD dst_unused:UNUSED_PAD src0_sel:BYTE_0 src1_sel:DWORD
	s_mov_b32 s10, 0x8889
	v_lshrrev_b16_e32 v8, 13, v8
	v_mul_u32_u24_sdwa v16, v86, s10 dst_sel:DWORD dst_unused:UNUSED_PAD src0_sel:WORD_0 src1_sel:DWORD
	v_mul_lo_u16_e32 v8, 60, v8
	v_lshrrev_b32_e32 v16, 21, v16
	v_sub_u16_e32 v8, v33, v8
	v_mul_lo_u16_e32 v16, 60, v16
	v_and_b32_e32 v74, 0xff, v8
	v_sub_u16_e32 v77, v86, v16
	v_mul_u32_u24_e32 v8, 5, v74
	v_mul_u32_u24_e32 v16, 5, v77
	v_lshlrev_b32_e32 v30, 3, v8
	v_lshlrev_b32_e32 v31, 3, v16
	global_load_dwordx4 v[8:11], v30, s[4:5] offset:416
	global_load_dwordx4 v[12:15], v30, s[4:5] offset:400
	global_load_dwordx2 v[54:55], v31, s[4:5] offset:432
	global_load_dwordx4 v[16:19], v31, s[4:5] offset:416
	global_load_dwordx2 v[28:29], v30, s[4:5] offset:432
	global_load_dwordx4 v[20:23], v31, s[4:5] offset:400
	v_mul_u32_u24_sdwa v30, v84, s10 dst_sel:DWORD dst_unused:UNUSED_PAD src0_sel:WORD_0 src1_sel:DWORD
	v_lshrrev_b32_e32 v30, 21, v30
	v_mul_lo_u16_e32 v30, 60, v30
	v_sub_u16_e32 v109, v84, v30
	v_mul_u32_u24_e32 v30, 5, v109
	v_lshlrev_b32_e32 v30, 3, v30
	global_load_dwordx2 v[56:57], v30, s[4:5] offset:432
	global_load_dwordx4 v[88:91], v30, s[4:5] offset:416
	global_load_dwordx4 v[92:95], v30, s[4:5] offset:400
	ds_read2_b64 v[96:99], v100 offset1:60
	ds_read2_b64 v[30:33], v102 offset0:56 offset1:116
	ds_read2_b64 v[110:113], v106 offset0:160 offset1:220
	;; [unrolled: 1-line block ×3, first 2 shown]
	v_lshl_add_u32 v128, v70, 3, 0
	v_lshl_add_u32 v129, v74, 3, 0
	;; [unrolled: 1-line block ×4, first 2 shown]
	s_mov_b64 s[10:11], 0x1450
	s_waitcnt vmcnt(14) lgkmcnt(5)
	v_pk_mul_f32 v[34:35], v[44:45], v[60:61] op_sel:[0,1]
	s_nop 0
	v_pk_fma_f32 v[36:37], v[44:45], v[60:61], v[34:35] op_sel:[0,0,1] op_sel_hi:[1,0,0]
	v_pk_fma_f32 v[38:39], v[44:45], v[60:61], v[34:35] op_sel:[0,0,1] op_sel_hi:[1,0,0] neg_lo:[1,0,0] neg_hi:[1,0,0]
	s_waitcnt lgkmcnt(4)
	v_pk_mul_f32 v[34:35], v[46:47], v[64:65] op_sel:[0,1]
	s_waitcnt vmcnt(13)
	v_mov_b32_e32 v52, v51
	v_pk_fma_f32 v[40:41], v[46:47], v[64:65], v[34:35] op_sel:[0,0,1] op_sel_hi:[1,1,0]
	v_pk_fma_f32 v[34:35], v[46:47], v[64:65], v[34:35] op_sel:[0,0,1] op_sel_hi:[1,0,0] neg_lo:[1,0,0] neg_hi:[1,0,0]
	v_mov_b32_e32 v37, v39
	v_mov_b32_e32 v41, v35
	s_waitcnt lgkmcnt(2)
	v_pk_mul_f32 v[34:35], v[30:31], v[48:49] op_sel:[0,1]
	v_mov_b32_e32 v38, v36
	v_pk_fma_f32 v[42:43], v[30:31], v[48:49], v[34:35] op_sel:[0,0,1] op_sel_hi:[1,1,0]
	v_pk_fma_f32 v[30:31], v[30:31], v[48:49], v[34:35] op_sel:[0,0,1] op_sel_hi:[1,0,0] neg_lo:[0,0,1] neg_hi:[0,0,1]
	s_nop 0
	v_mov_b32_e32 v43, v31
	s_waitcnt lgkmcnt(1)
	v_pk_mul_f32 v[30:31], v[110:111], v[52:53] op_sel_hi:[1,0]
	v_pk_add_f32 v[36:37], v[36:37], v[42:43]
	v_pk_fma_f32 v[34:35], v[110:111], v[50:51], v[30:31] op_sel:[0,0,1] op_sel_hi:[1,1,0]
	v_pk_fma_f32 v[30:31], v[110:111], v[50:51], v[30:31] op_sel:[0,0,1] op_sel_hi:[1,0,0] neg_lo:[0,0,1] neg_hi:[0,0,1]
	s_nop 0
	v_mov_b32_e32 v35, v31
	s_waitcnt vmcnt(12) lgkmcnt(0)
	v_pk_mul_f32 v[30:31], v[114:115], v[26:27] op_sel:[0,1]
	s_nop 0
	v_pk_fma_f32 v[60:61], v[114:115], v[26:27], v[30:31] op_sel:[0,0,1] op_sel_hi:[1,1,0]
	v_pk_fma_f32 v[30:31], v[114:115], v[26:27], v[30:31] op_sel:[0,0,1] op_sel_hi:[1,0,0] neg_lo:[0,0,1] neg_hi:[0,0,1]
	s_nop 0
	v_mov_b32_e32 v61, v31
	v_pk_add_f32 v[30:31], v[96:97], v[40:41]
	v_pk_add_f32 v[68:69], v[42:43], v[60:61] neg_lo:[0,1] neg_hi:[0,1]
	v_pk_add_f32 v[64:65], v[30:31], v[34:35]
	v_pk_add_f32 v[30:31], v[42:43], v[60:61]
	;; [unrolled: 1-line block ×3, first 2 shown]
	v_fmac_f32_e32 v39, -0.5, v31
	v_pk_add_f32 v[60:61], v[40:41], v[34:35]
	v_pk_add_f32 v[34:35], v[40:41], v[34:35] neg_lo:[0,1] neg_hi:[0,1]
	v_fmamk_f32 v36, v68, 0x3f5db3d7, v39
	v_fmac_f32_e32 v39, 0xbf5db3d7, v68
	v_pk_fma_f32 v[60:61], v[60:61], 0.5, v[96:97] op_sel_hi:[1,0,1] neg_lo:[1,0,0] neg_hi:[1,0,0]
	v_pk_mul_f32 v[34:35], v[34:35], s[6:7] op_sel_hi:[1,0]
	v_fmac_f32_e32 v38, -0.5, v30
	v_pk_add_f32 v[40:41], v[60:61], v[34:35] op_sel:[0,1] op_sel_hi:[1,0] neg_lo:[0,1] neg_hi:[0,1]
	v_pk_add_f32 v[60:61], v[60:61], v[34:35] op_sel:[0,1] op_sel_hi:[1,0]
	v_pk_mul_f32 v[34:35], v[36:37], s[6:7] op_sel_hi:[0,1]
	v_mov_b32_e32 v36, v39
	v_fmamk_f32 v58, v69, 0xbf5db3d7, v38
	v_fmac_f32_e32 v38, 0x3f5db3d7, v69
	v_pk_mul_f32 v[36:37], v[36:37], s[6:7] op_sel_hi:[0,1]
	v_mov_b32_e32 v69, v61
	v_pk_fma_f32 v[78:79], v[38:39], s[2:3], v[36:37] op_sel_hi:[0,1,1] neg_lo:[0,0,1] neg_hi:[0,0,1]
	v_mov_b32_e32 v61, v41
	v_pk_add_f32 v[30:31], v[64:65], v[42:43]
	v_pk_add_f32 v[36:37], v[60:61], v[78:79]
	v_pk_add_f32 v[38:39], v[64:65], v[42:43] neg_lo:[0,1] neg_hi:[0,1]
	v_pk_add_f32 v[42:43], v[60:61], v[78:79] neg_lo:[0,1] neg_hi:[0,1]
	v_pk_mul_f32 v[60:61], v[32:33], v[48:49] op_sel:[0,1]
	v_pk_fma_f32 v[72:73], v[58:59], s[8:9], v[34:35] neg_lo:[0,0,1] neg_hi:[0,0,1]
	v_pk_fma_f32 v[64:65], v[32:33], v[48:49], v[60:61] op_sel:[0,0,1] op_sel_hi:[1,1,0]
	v_pk_fma_f32 v[32:33], v[32:33], v[48:49], v[60:61] op_sel:[0,0,1] op_sel_hi:[1,0,0] neg_lo:[0,0,1] neg_hi:[0,0,1]
	v_pk_fma_f32 v[34:35], v[58:59], s[8:9], v[34:35] op_sel_hi:[0,1,1]
	v_mov_b32_e32 v65, v33
	v_pk_mul_f32 v[32:33], v[112:113], v[52:53] op_sel_hi:[1,0]
	v_mov_b32_e32 v68, v40
	v_mov_b32_e32 v73, v35
	v_pk_fma_f32 v[48:49], v[112:113], v[50:51], v[32:33] op_sel:[0,0,1] op_sel_hi:[1,1,0]
	v_pk_fma_f32 v[32:33], v[112:113], v[50:51], v[32:33] op_sel:[0,0,1] op_sel_hi:[1,0,0] neg_lo:[0,0,1] neg_hi:[0,0,1]
	v_pk_mul_f32 v[60:61], v[62:63], v[44:45] op_sel:[0,1]
	v_pk_add_f32 v[34:35], v[68:69], v[72:73]
	v_pk_add_f32 v[40:41], v[68:69], v[72:73] neg_lo:[0,1] neg_hi:[0,1]
	v_mov_b32_e32 v49, v33
	v_pk_mul_f32 v[32:33], v[116:117], v[26:27] op_sel:[0,1]
	v_pk_fma_f32 v[68:69], v[62:63], v[44:45], v[60:61] op_sel:[0,0,1] op_sel_hi:[1,0,0]
	v_pk_fma_f32 v[44:45], v[62:63], v[44:45], v[60:61] op_sel:[0,0,1] op_sel_hi:[1,0,0] neg_lo:[0,0,1] neg_hi:[0,0,1]
	v_pk_fma_f32 v[50:51], v[116:117], v[26:27], v[32:33] op_sel:[0,0,1] op_sel_hi:[1,1,0]
	v_pk_fma_f32 v[26:27], v[116:117], v[26:27], v[32:33] op_sel:[0,0,1] op_sel_hi:[1,0,0] neg_lo:[0,0,1] neg_hi:[0,0,1]
	v_mov_b32_e32 v44, v47
	v_mov_b32_e32 v51, v27
	v_pk_mul_f32 v[60:61], v[66:67], v[44:45] op_sel_hi:[1,0]
	v_pk_add_f32 v[26:27], v[64:65], v[50:51]
	v_pk_fma_f32 v[62:63], v[66:67], v[46:47], v[60:61] op_sel:[0,0,1] op_sel_hi:[1,1,0]
	v_pk_fma_f32 v[46:47], v[66:67], v[46:47], v[60:61] op_sel:[0,0,1] op_sel_hi:[1,0,0] neg_lo:[0,0,1] neg_hi:[0,0,1]
	v_pk_add_f32 v[32:33], v[64:65], v[50:51] neg_lo:[0,1] neg_hi:[0,1]
	v_mov_b32_e32 v69, v45
	v_mov_b32_e32 v63, v47
	;; [unrolled: 1-line block ×3, first 2 shown]
	v_fmac_f32_e32 v45, -0.5, v27
	v_pk_add_f32 v[46:47], v[98:99], v[62:63]
	v_fmac_f32_e32 v44, -0.5, v26
	v_fmamk_f32 v52, v32, 0x3f5db3d7, v45
	v_pk_add_f32 v[46:47], v[46:47], v[48:49]
	v_fmamk_f32 v26, v33, 0xbf5db3d7, v44
	v_fmac_f32_e32 v44, 0x3f5db3d7, v33
	v_pk_add_f32 v[60:61], v[68:69], v[64:65]
	v_fmac_f32_e32 v45, 0xbf5db3d7, v32
	v_pk_add_f32 v[32:33], v[62:63], v[48:49]
	v_pk_add_f32 v[48:49], v[62:63], v[48:49] neg_lo:[0,1] neg_hi:[0,1]
	v_pk_mul_f32 v[64:65], v[52:53], s[6:7] op_sel_hi:[0,1]
	v_pk_fma_f32 v[32:33], v[32:33], 0.5, v[98:99] op_sel_hi:[1,0,1] neg_lo:[1,0,0] neg_hi:[1,0,0]
	v_pk_mul_f32 v[48:49], v[48:49], s[6:7] op_sel_hi:[1,0]
	v_pk_fma_f32 v[66:67], v[26:27], s[8:9], v[64:65] neg_lo:[0,0,1] neg_hi:[0,0,1]
	v_pk_fma_f32 v[26:27], v[26:27], s[8:9], v[64:65] op_sel_hi:[0,1,1]
	v_pk_add_f32 v[62:63], v[32:33], v[48:49] op_sel:[0,1] op_sel_hi:[1,0] neg_lo:[0,1] neg_hi:[0,1]
	v_pk_add_f32 v[32:33], v[32:33], v[48:49] op_sel:[0,1] op_sel_hi:[1,0]
	v_mov_b32_e32 v26, v45
	v_mov_b32_e32 v48, v62
	;; [unrolled: 1-line block ×4, first 2 shown]
	v_pk_mul_f32 v[26:27], v[26:27], s[6:7] op_sel_hi:[0,1]
	v_pk_add_f32 v[72:73], v[48:49], v[66:67]
	v_pk_fma_f32 v[26:27], v[44:45], s[2:3], v[26:27] op_sel_hi:[0,1,1] neg_lo:[0,0,1] neg_hi:[0,0,1]
	v_mov_b32_e32 v33, v63
	v_pk_add_f32 v[120:121], v[48:49], v[66:67] neg_lo:[0,1] neg_hi:[0,1]
	ds_read2_b64 v[62:65], v107 offset0:88 offset1:148
	ds_read2_b64 v[66:69], v101 offset0:192 offset1:252
	;; [unrolled: 1-line block ×5, first 2 shown]
	v_pk_add_f32 v[50:51], v[60:61], v[50:51]
	v_pk_add_f32 v[78:79], v[32:33], v[26:27]
	v_pk_add_f32 v[122:123], v[32:33], v[26:27] neg_lo:[0,1] neg_hi:[0,1]
	s_waitcnt vmcnt(0) lgkmcnt(4)
	v_pk_mul_f32 v[26:27], v[64:65], v[92:93] op_sel:[0,1]
	v_pk_add_f32 v[60:61], v[46:47], v[50:51]
	v_pk_add_f32 v[118:119], v[46:47], v[50:51] neg_lo:[0,1] neg_hi:[0,1]
	v_pk_fma_f32 v[50:51], v[64:65], v[92:93], v[26:27] op_sel:[0,0,1] op_sel_hi:[1,0,0]
	v_pk_fma_f32 v[26:27], v[64:65], v[92:93], v[26:27] op_sel:[0,0,1] op_sel_hi:[1,0,0] neg_lo:[0,0,1] neg_hi:[0,0,1]
	ds_read_b64 v[48:49], v85
	v_mov_b32_e32 v26, v95
	s_waitcnt lgkmcnt(4)
	v_pk_mul_f32 v[44:45], v[68:69], v[26:27] op_sel_hi:[1,0]
	v_mov_b32_e32 v26, v91
	v_pk_fma_f32 v[32:33], v[68:69], v[94:95], v[44:45] op_sel:[0,0,1] op_sel_hi:[1,1,0]
	v_pk_fma_f32 v[44:45], v[68:69], v[94:95], v[44:45] op_sel:[0,0,1] op_sel_hi:[1,0,0] neg_lo:[0,0,1] neg_hi:[0,0,1]
	s_waitcnt lgkmcnt(2)
	v_pk_mul_f32 v[46:47], v[112:113], v[26:27] op_sel_hi:[1,0]
	v_mov_b32_e32 v33, v45
	v_pk_mul_f32 v[44:45], v[98:99], v[88:89] op_sel:[0,1]
	v_mov_b32_e32 v51, v27
	v_pk_fma_f32 v[64:65], v[98:99], v[88:89], v[44:45] op_sel:[0,0,1] op_sel_hi:[1,1,0]
	v_pk_fma_f32 v[44:45], v[98:99], v[88:89], v[44:45] op_sel:[0,0,1] op_sel_hi:[1,0,0] neg_lo:[0,0,1] neg_hi:[0,0,1]
	ds_read_b64 v[98:99], v81
	v_mov_b32_e32 v65, v45
	v_pk_fma_f32 v[44:45], v[112:113], v[90:91], v[46:47] op_sel:[0,0,1] op_sel_hi:[1,1,0]
	v_pk_fma_f32 v[46:47], v[112:113], v[90:91], v[46:47] op_sel:[0,0,1] op_sel_hi:[1,0,0] neg_lo:[0,0,1] neg_hi:[0,0,1]
	v_mov_b32_e32 v26, v50
	v_mov_b32_e32 v45, v47
	s_waitcnt lgkmcnt(2)
	v_pk_mul_f32 v[46:47], v[116:117], v[56:57] op_sel:[0,1]
	v_pk_add_f32 v[50:51], v[50:51], v[64:65]
	v_pk_fma_f32 v[68:69], v[116:117], v[56:57], v[46:47] op_sel:[0,0,1] op_sel_hi:[1,1,0]
	v_pk_fma_f32 v[46:47], v[116:117], v[56:57], v[46:47] op_sel:[0,0,1] op_sel_hi:[1,0,0] neg_lo:[0,0,1] neg_hi:[0,0,1]
	s_nop 0
	v_mov_b32_e32 v69, v47
	v_pk_add_f32 v[56:57], v[64:65], v[68:69]
	v_pk_add_f32 v[88:89], v[64:65], v[68:69] neg_lo:[0,1] neg_hi:[0,1]
	v_pk_mul_f32 v[64:65], v[62:63], v[20:21] op_sel:[0,1]
	v_pk_add_f32 v[50:51], v[50:51], v[68:69]
	v_pk_fma_f32 v[68:69], v[62:63], v[20:21], v[64:65] op_sel:[0,0,1] op_sel_hi:[1,0,0]
	v_pk_fma_f32 v[112:113], v[62:63], v[20:21], v[64:65] op_sel:[0,0,1] op_sel_hi:[1,0,0] neg_lo:[0,0,1] neg_hi:[0,0,1]
	v_mov_b32_e32 v20, v23
	v_pk_mul_f32 v[20:21], v[66:67], v[20:21] op_sel_hi:[1,0]
	v_mov_b32_e32 v69, v113
	v_pk_fma_f32 v[116:117], v[66:67], v[22:23], v[20:21] op_sel:[0,0,1] op_sel_hi:[1,1,0]
	v_pk_fma_f32 v[20:21], v[66:67], v[22:23], v[20:21] op_sel:[0,0,1] op_sel_hi:[1,0,0] neg_lo:[0,0,1] neg_hi:[0,0,1]
	v_mov_b32_e32 v70, v68
	v_mov_b32_e32 v117, v21
	v_pk_mul_f32 v[20:21], v[96:97], v[16:17] op_sel:[0,1]
	v_fmac_f32_e32 v26, -0.5, v56
	v_pk_fma_f32 v[22:23], v[96:97], v[16:17], v[20:21] op_sel:[0,0,1] op_sel_hi:[1,1,0]
	v_pk_fma_f32 v[16:17], v[96:97], v[16:17], v[20:21] op_sel:[0,0,1] op_sel_hi:[1,0,0] neg_lo:[0,0,1] neg_hi:[0,0,1]
	v_fmac_f32_e32 v27, -0.5, v57
	v_mov_b32_e32 v16, v19
	v_mov_b32_e32 v23, v17
	v_pk_mul_f32 v[16:17], v[110:111], v[16:17] op_sel_hi:[1,0]
	v_fmamk_f32 v52, v89, 0xbf5db3d7, v26
	v_pk_fma_f32 v[96:97], v[110:111], v[18:19], v[16:17] op_sel:[0,0,1] op_sel_hi:[1,1,0]
	v_pk_fma_f32 v[16:17], v[110:111], v[18:19], v[16:17] op_sel:[0,0,1] op_sel_hi:[1,0,0] neg_lo:[0,0,1] neg_hi:[0,0,1]
	v_fmac_f32_e32 v26, 0x3f5db3d7, v89
	v_mov_b32_e32 v97, v17
	v_pk_mul_f32 v[16:17], v[114:115], v[54:55] op_sel:[0,1]
	v_fmamk_f32 v58, v88, 0x3f5db3d7, v27
	v_pk_fma_f32 v[18:19], v[114:115], v[54:55], v[16:17] op_sel:[0,0,1] op_sel_hi:[1,1,0]
	v_pk_fma_f32 v[16:17], v[114:115], v[54:55], v[16:17] op_sel:[0,0,1] op_sel_hi:[1,0,0] neg_lo:[0,0,1] neg_hi:[0,0,1]
	v_fmac_f32_e32 v27, 0xbf5db3d7, v88
	v_mov_b32_e32 v19, v17
	s_waitcnt lgkmcnt(0)
	v_pk_add_f32 v[16:17], v[98:99], v[116:117]
	v_pk_add_f32 v[20:21], v[22:23], v[18:19] neg_lo:[0,1] neg_hi:[0,1]
	v_pk_add_f32 v[54:55], v[16:17], v[96:97]
	v_pk_add_f32 v[16:17], v[22:23], v[18:19]
	;; [unrolled: 1-line block ×3, first 2 shown]
	v_fmac_f32_e32 v70, -0.5, v16
	v_fmac_f32_e32 v113, -0.5, v17
	v_fmamk_f32 v74, v21, 0xbf5db3d7, v70
	v_fmac_f32_e32 v70, 0x3f5db3d7, v21
	v_pk_add_f32 v[110:111], v[22:23], v[18:19]
	v_fmamk_f32 v112, v20, 0x3f5db3d7, v113
	v_fmac_f32_e32 v113, 0xbf5db3d7, v20
	ds_read2_b64 v[16:19], v100 offset0:120 offset1:180
	ds_read2_b64 v[20:23], v71 offset0:96 offset1:156
	;; [unrolled: 1-line block ×6, first 2 shown]
	s_waitcnt lgkmcnt(4)
	v_pk_mul_f32 v[124:125], v[22:23], v[12:13] op_sel:[0,1]
	s_waitcnt lgkmcnt(0)
	v_pk_fma_f32 v[126:127], v[22:23], v[12:13], v[124:125] op_sel:[0,0,1] op_sel_hi:[1,0,0]
	v_pk_fma_f32 v[12:13], v[22:23], v[12:13], v[124:125] op_sel:[0,0,1] op_sel_hi:[1,0,0] neg_lo:[0,0,1] neg_hi:[0,0,1]
	; wave barrier
	s_nop 0
	v_mov_b32_e32 v12, v15
	v_pk_mul_f32 v[22:23], v[64:65], v[12:13] op_sel_hi:[1,0]
	ds_write2_b64 v100, v[30:31], v[34:35] offset1:60
	ds_write2_b64 v100, v[36:37], v[38:39] offset0:120 offset1:180
	ds_write2_b64 v108, v[40:41], v[42:43] offset0:112 offset1:172
	;; [unrolled: 1-line block ×5, first 2 shown]
	v_pk_fma_f32 v[124:125], v[64:65], v[14:15], v[22:23] op_sel:[0,0,1] op_sel_hi:[1,1,0]
	v_pk_fma_f32 v[14:15], v[64:65], v[14:15], v[22:23] op_sel:[0,0,1] op_sel_hi:[1,0,0] neg_lo:[0,0,1] neg_hi:[0,0,1]
	v_mov_b32_e32 v127, v13
	v_mov_b32_e32 v125, v15
	v_pk_mul_f32 v[14:15], v[68:69], v[8:9] op_sel:[0,1]
	v_mov_b32_e32 v12, v126
	v_pk_fma_f32 v[22:23], v[68:69], v[8:9], v[14:15] op_sel:[0,0,1] op_sel_hi:[1,1,0]
	v_pk_fma_f32 v[8:9], v[68:69], v[8:9], v[14:15] op_sel:[0,0,1] op_sel_hi:[1,0,0] neg_lo:[0,0,1] neg_hi:[0,0,1]
	v_pk_mul_f32 v[68:69], v[20:21], v[4:5] op_sel:[0,1]
	v_mov_b32_e32 v8, v11
	v_mov_b32_e32 v23, v9
	v_pk_mul_f32 v[8:9], v[90:91], v[8:9] op_sel_hi:[1,0]
	v_pk_add_f32 v[114:115], v[54:55], v[110:111]
	v_pk_fma_f32 v[14:15], v[90:91], v[10:11], v[8:9] op_sel:[0,0,1] op_sel_hi:[1,1,0]
	v_pk_fma_f32 v[8:9], v[90:91], v[10:11], v[8:9] op_sel:[0,0,1] op_sel_hi:[1,0,0] neg_lo:[0,0,1] neg_hi:[0,0,1]
	v_pk_fma_f32 v[90:91], v[20:21], v[4:5], v[68:69] op_sel:[0,0,1] op_sel_hi:[1,0,0]
	v_pk_fma_f32 v[4:5], v[20:21], v[4:5], v[68:69] op_sel:[0,0,1] op_sel_hi:[1,0,0] neg_lo:[0,0,1] neg_hi:[0,0,1]
	v_mov_b32_e32 v15, v9
	v_mov_b32_e32 v4, v7
	v_pk_mul_f32 v[20:21], v[62:63], v[4:5] op_sel_hi:[1,0]
	v_mov_b32_e32 v91, v5
	v_pk_fma_f32 v[68:69], v[62:63], v[6:7], v[20:21] op_sel:[0,0,1] op_sel_hi:[1,1,0]
	v_pk_fma_f32 v[6:7], v[62:63], v[6:7], v[20:21] op_sel:[0,0,1] op_sel_hi:[1,0,0] neg_lo:[0,0,1] neg_hi:[0,0,1]
	v_mov_b32_e32 v4, v90
	v_mov_b32_e32 v69, v7
	v_pk_mul_f32 v[6:7], v[66:67], v[0:1] op_sel:[0,1]
	v_pk_mul_f32 v[8:9], v[94:95], v[28:29] op_sel:[0,1]
	v_pk_fma_f32 v[20:21], v[66:67], v[0:1], v[6:7] op_sel:[0,0,1] op_sel_hi:[1,1,0]
	v_pk_fma_f32 v[0:1], v[66:67], v[0:1], v[6:7] op_sel:[0,0,1] op_sel_hi:[1,0,0] neg_lo:[0,0,1] neg_hi:[0,0,1]
	v_pk_fma_f32 v[10:11], v[94:95], v[28:29], v[8:9] op_sel:[0,0,1] op_sel_hi:[1,1,0]
	v_mov_b32_e32 v0, v3
	v_mov_b32_e32 v21, v1
	v_pk_mul_f32 v[0:1], v[88:89], v[0:1] op_sel_hi:[1,0]
	v_pk_fma_f32 v[8:9], v[94:95], v[28:29], v[8:9] op_sel:[0,0,1] op_sel_hi:[1,0,0] neg_lo:[0,0,1] neg_hi:[0,0,1]
	v_pk_fma_f32 v[6:7], v[88:89], v[2:3], v[0:1] op_sel:[0,0,1] op_sel_hi:[1,1,0]
	v_pk_fma_f32 v[0:1], v[88:89], v[2:3], v[0:1] op_sel:[0,0,1] op_sel_hi:[1,0,0] neg_lo:[0,0,1] neg_hi:[0,0,1]
	v_mov_b32_e32 v11, v9
	v_mov_b32_e32 v7, v1
	v_pk_mul_f32 v[0:1], v[92:93], v[24:25] op_sel:[0,1]
	v_pk_add_f32 v[30:31], v[68:69], v[6:7]
	v_pk_fma_f32 v[2:3], v[92:93], v[24:25], v[0:1] op_sel:[0,0,1] op_sel_hi:[1,1,0]
	v_pk_fma_f32 v[0:1], v[92:93], v[24:25], v[0:1] op_sel:[0,0,1] op_sel_hi:[1,0,0] neg_lo:[0,0,1] neg_hi:[0,0,1]
	v_pk_add_f32 v[28:29], v[22:23], v[10:11]
	v_mov_b32_e32 v3, v1
	v_pk_add_f32 v[24:25], v[20:21], v[2:3]
	v_pk_add_f32 v[0:1], v[16:17], v[68:69]
	v_pk_add_f32 v[62:63], v[20:21], v[2:3] neg_lo:[0,1] neg_hi:[0,1]
	v_pk_add_f32 v[20:21], v[90:91], v[20:21]
	v_fmac_f32_e32 v5, -0.5, v25
	v_pk_add_f32 v[0:1], v[0:1], v[6:7]
	v_fmac_f32_e32 v4, -0.5, v24
	v_pk_add_f32 v[2:3], v[20:21], v[2:3]
	v_fmamk_f32 v20, v62, 0x3f5db3d7, v5
	v_pk_add_f32 v[6:7], v[68:69], v[6:7] neg_lo:[0,1] neg_hi:[0,1]
	v_fmamk_f32 v24, v63, 0xbf5db3d7, v4
	v_pk_fma_f32 v[16:17], v[30:31], 0.5, v[16:17] op_sel_hi:[1,0,1] neg_lo:[1,0,0] neg_hi:[1,0,0]
	v_pk_mul_f32 v[6:7], v[6:7], s[6:7] op_sel_hi:[1,0]
	v_pk_mul_f32 v[20:21], v[20:21], s[6:7] op_sel_hi:[0,1]
	v_pk_add_f32 v[30:31], v[16:17], v[6:7] op_sel:[0,1] op_sel_hi:[1,0] neg_lo:[0,1] neg_hi:[0,1]
	v_pk_add_f32 v[6:7], v[16:17], v[6:7] op_sel:[0,1] op_sel_hi:[1,0]
	v_pk_fma_f32 v[34:35], v[24:25], s[8:9], v[20:21] neg_lo:[0,0,1] neg_hi:[0,0,1]
	v_pk_fma_f32 v[20:21], v[24:25], s[8:9], v[20:21] op_sel_hi:[0,1,1]
	v_mov_b32_e32 v16, v30
	v_mov_b32_e32 v17, v7
	;; [unrolled: 1-line block ×3, first 2 shown]
	v_fmac_f32_e32 v4, 0x3f5db3d7, v63
	v_fmac_f32_e32 v5, 0xbf5db3d7, v62
	v_pk_add_f32 v[62:63], v[0:1], v[2:3]
	v_pk_add_f32 v[20:21], v[16:17], v[34:35]
	v_add_u32_e32 v7, 0x1400, v128
	ds_write2_b64 v7, v[62:63], v[20:21] offset0:80 offset1:140
	v_mov_b32_e32 v20, v5
	v_pk_mul_f32 v[20:21], v[20:21], s[6:7] op_sel_hi:[0,1]
	v_pk_add_f32 v[64:65], v[22:23], v[10:11] neg_lo:[0,1] neg_hi:[0,1]
	v_pk_add_f32 v[22:23], v[126:127], v[22:23]
	v_pk_fma_f32 v[4:5], v[4:5], s[2:3], v[20:21] op_sel_hi:[0,1,1] neg_lo:[0,0,1] neg_hi:[0,0,1]
	v_mov_b32_e32 v7, v31
	v_pk_add_f32 v[10:11], v[22:23], v[10:11]
	v_pk_add_f32 v[20:21], v[6:7], v[4:5]
	v_pk_add_f32 v[0:1], v[0:1], v[2:3] neg_lo:[0,1] neg_hi:[0,1]
	v_add_u32_e32 v23, 0x1800, v128
	v_fmac_f32_e32 v13, -0.5, v29
	ds_write2_b64 v23, v[20:21], v[0:1] offset0:72 offset1:132
	v_pk_add_f32 v[0:1], v[16:17], v[34:35] neg_lo:[0,1] neg_hi:[0,1]
	v_pk_add_f32 v[2:3], v[6:7], v[4:5] neg_lo:[0,1] neg_hi:[0,1]
	v_fmac_f32_e32 v12, -0.5, v28
	v_fmamk_f32 v22, v64, 0x3f5db3d7, v13
	ds_write2_b64 v23, v[0:1], v[2:3] offset0:192 offset1:252
	v_pk_add_f32 v[0:1], v[124:125], v[14:15]
	v_pk_add_f32 v[2:3], v[124:125], v[14:15] neg_lo:[0,1] neg_hi:[0,1]
	v_pk_add_f32 v[8:9], v[18:19], v[124:125]
	v_fmamk_f32 v28, v65, 0xbf5db3d7, v12
	v_pk_fma_f32 v[0:1], v[0:1], 0.5, v[18:19] op_sel_hi:[1,0,1] neg_lo:[1,0,0] neg_hi:[1,0,0]
	v_pk_mul_f32 v[2:3], v[2:3], s[6:7] op_sel_hi:[1,0]
	v_pk_mul_f32 v[6:7], v[22:23], s[6:7] op_sel_hi:[0,1]
	v_pk_add_f32 v[8:9], v[8:9], v[14:15]
	v_pk_add_f32 v[4:5], v[0:1], v[2:3] op_sel:[0,1] op_sel_hi:[1,0] neg_lo:[0,1] neg_hi:[0,1]
	v_pk_add_f32 v[0:1], v[0:1], v[2:3] op_sel:[0,1] op_sel_hi:[1,0]
	v_pk_fma_f32 v[14:15], v[28:29], s[8:9], v[6:7] neg_lo:[0,0,1] neg_hi:[0,0,1]
	v_pk_fma_f32 v[6:7], v[28:29], s[8:9], v[6:7] op_sel_hi:[0,1,1]
	v_fmac_f32_e32 v13, 0xbf5db3d7, v64
	v_mov_b32_e32 v2, v4
	v_mov_b32_e32 v3, v1
	v_mov_b32_e32 v15, v7
	v_fmac_f32_e32 v12, 0x3f5db3d7, v65
	v_pk_add_f32 v[64:65], v[8:9], v[10:11]
	v_pk_add_f32 v[6:7], v[2:3], v[14:15]
	v_add_u32_e32 v16, 0x2000, v129
	v_mov_b32_e32 v4, v13
	ds_write2_b64 v16, v[64:65], v[6:7] offset0:56 offset1:116
	v_pk_mul_f32 v[6:7], v[4:5], s[6:7] op_sel_hi:[0,1]
	v_pk_fma_f32 v[6:7], v[12:13], s[2:3], v[6:7] op_sel_hi:[0,1,1] neg_lo:[0,0,1] neg_hi:[0,0,1]
	v_mov_b32_e32 v1, v5
	v_pk_add_f32 v[4:5], v[0:1], v[6:7]
	v_pk_add_f32 v[8:9], v[8:9], v[10:11] neg_lo:[0,1] neg_hi:[0,1]
	ds_write2_b64 v16, v[4:5], v[8:9] offset0:176 offset1:236
	v_pk_add_f32 v[2:3], v[2:3], v[14:15] neg_lo:[0,1] neg_hi:[0,1]
	v_pk_add_f32 v[0:1], v[0:1], v[6:7] neg_lo:[0,1] neg_hi:[0,1]
	v_add_u32_e32 v4, 0x2800, v129
	ds_write2_b64 v4, v[2:3], v[0:1] offset0:40 offset1:100
	v_pk_add_f32 v[0:1], v[116:117], v[96:97]
	v_pk_add_f32 v[2:3], v[116:117], v[96:97] neg_lo:[0,1] neg_hi:[0,1]
	v_pk_fma_f32 v[0:1], v[0:1], 0.5, v[98:99] op_sel_hi:[1,0,1] neg_lo:[1,0,0] neg_hi:[1,0,0]
	v_pk_mul_f32 v[2:3], v[2:3], s[6:7] op_sel_hi:[1,0]
	v_pk_mul_f32 v[6:7], v[112:113], s[6:7] op_sel_hi:[0,1]
	v_pk_add_f32 v[4:5], v[0:1], v[2:3] op_sel:[0,1] op_sel_hi:[1,0] neg_lo:[0,1] neg_hi:[0,1]
	v_pk_add_f32 v[0:1], v[0:1], v[2:3] op_sel:[0,1] op_sel_hi:[1,0]
	v_pk_fma_f32 v[8:9], v[74:75], s[8:9], v[6:7] neg_lo:[0,0,1] neg_hi:[0,0,1]
	v_pk_fma_f32 v[6:7], v[74:75], s[8:9], v[6:7] op_sel_hi:[0,1,1]
	v_mov_b32_e32 v2, v4
	v_mov_b32_e32 v3, v1
	;; [unrolled: 1-line block ×3, first 2 shown]
	v_pk_add_f32 v[6:7], v[2:3], v[8:9]
	v_add_u32_e32 v1, 0x2800, v77
	v_mov_b32_e32 v4, v113
	ds_write2_b64 v1, v[114:115], v[6:7] offset0:160 offset1:220
	v_pk_mul_f32 v[6:7], v[4:5], s[6:7] op_sel_hi:[0,1]
	v_pk_fma_f32 v[6:7], v[70:71], s[2:3], v[6:7] op_sel_hi:[0,1,1] neg_lo:[0,0,1] neg_hi:[0,0,1]
	v_mov_b32_e32 v1, v5
	v_pk_add_f32 v[4:5], v[0:1], v[6:7]
	v_add_u32_e32 v12, 0x3000, v77
	v_pk_add_f32 v[2:3], v[2:3], v[8:9] neg_lo:[0,1] neg_hi:[0,1]
	v_pk_add_f32 v[0:1], v[0:1], v[6:7] neg_lo:[0,1] neg_hi:[0,1]
	ds_write2_b64 v12, v[2:3], v[0:1] offset0:144 offset1:204
	v_pk_add_f32 v[0:1], v[32:33], v[44:45]
	v_pk_add_f32 v[2:3], v[32:33], v[44:45] neg_lo:[0,1] neg_hi:[0,1]
	v_pk_add_f32 v[10:11], v[54:55], v[110:111] neg_lo:[0,1] neg_hi:[0,1]
	v_pk_fma_f32 v[0:1], v[0:1], 0.5, v[48:49] op_sel_hi:[1,0,1] neg_lo:[1,0,0] neg_hi:[1,0,0]
	v_pk_mul_f32 v[2:3], v[2:3], s[6:7] op_sel_hi:[1,0]
	v_pk_mul_f32 v[6:7], v[58:59], s[6:7] op_sel_hi:[0,1]
	v_pk_add_f32 v[46:47], v[48:49], v[32:33]
	ds_write2_b64 v12, v[4:5], v[10:11] offset0:24 offset1:84
	v_pk_add_f32 v[4:5], v[0:1], v[2:3] op_sel:[0,1] op_sel_hi:[1,0] neg_lo:[0,1] neg_hi:[0,1]
	v_pk_add_f32 v[0:1], v[0:1], v[2:3] op_sel:[0,1] op_sel_hi:[1,0]
	v_pk_fma_f32 v[8:9], v[52:53], s[8:9], v[6:7] neg_lo:[0,0,1] neg_hi:[0,0,1]
	v_pk_fma_f32 v[6:7], v[52:53], s[8:9], v[6:7] op_sel_hi:[0,1,1]
	v_pk_add_f32 v[46:47], v[46:47], v[44:45]
	v_mov_b32_e32 v2, v4
	v_mov_b32_e32 v3, v1
	;; [unrolled: 1-line block ×3, first 2 shown]
	v_pk_add_f32 v[56:57], v[46:47], v[50:51]
	v_pk_add_f32 v[6:7], v[2:3], v[8:9]
	v_add_u32_e32 v12, 0x3800, v109
	v_mov_b32_e32 v4, v27
	ds_write2_b64 v12, v[56:57], v[6:7] offset0:8 offset1:68
	v_pk_mul_f32 v[6:7], v[4:5], s[6:7] op_sel_hi:[0,1]
	v_pk_fma_f32 v[6:7], v[26:27], s[2:3], v[6:7] op_sel_hi:[0,1,1] neg_lo:[0,0,1] neg_hi:[0,0,1]
	v_mov_b32_e32 v1, v5
	v_pk_add_f32 v[4:5], v[0:1], v[6:7]
	v_pk_add_f32 v[10:11], v[46:47], v[50:51] neg_lo:[0,1] neg_hi:[0,1]
	ds_write2_b64 v12, v[4:5], v[10:11] offset0:128 offset1:188
	v_pk_add_f32 v[2:3], v[2:3], v[8:9] neg_lo:[0,1] neg_hi:[0,1]
	v_pk_add_f32 v[0:1], v[0:1], v[6:7] neg_lo:[0,1] neg_hi:[0,1]
	v_add_u32_e32 v4, 0x3c00, v109
	ds_write2_b64 v4, v[2:3], v[0:1] offset0:120 offset1:180
	s_waitcnt lgkmcnt(0)
	; wave barrier
	s_waitcnt lgkmcnt(0)
	global_load_dwordx4 v[4:7], v59, s[4:5] offset:2800
	global_load_dwordx4 v[32:35], v59, s[4:5] offset:2816
	global_load_dwordx2 v[26:27], v59, s[4:5] offset:2832
	v_mul_u32_u24_e32 v0, 5, v53
	v_lshlrev_b32_e32 v0, 3, v0
	global_load_dwordx4 v[38:41], v0, s[4:5] offset:2800
	global_load_dwordx4 v[48:51], v0, s[4:5] offset:2816
	global_load_dwordx2 v[42:43], v0, s[4:5] offset:2832
	v_mov_b32_e32 v1, v87
	v_lshl_add_u64 v[0:1], s[4:5], 0, v[0:1]
	v_add_co_u32_e32 v8, vcc, s13, v0
	ds_read2_b64 v[20:23], v105 offset0:104 offset1:164
	ds_read2_b64 v[44:47], v76 offset0:80 offset1:140
	v_addc_co_u32_e32 v9, vcc, 0, v1, vcc
	v_lshl_add_u64 v[2:3], v[0:1], 0, s[10:11]
	global_load_dwordx4 v[54:57], v[8:9], off offset:1104
	global_load_dwordx2 v[52:53], v[2:3], off offset:32
	global_load_dwordx4 v[64:67], v[2:3], off offset:16
	s_mov_b64 s[10:11], 0x1db0
	v_lshl_add_u64 v[0:1], v[0:1], 0, s[10:11]
	global_load_dwordx4 v[88:91], v[8:9], off offset:3504
	global_load_dwordx4 v[92:95], v[0:1], off offset:16
	v_mul_u32_u24_e32 v2, 5, v86
	v_lshlrev_b32_e32 v2, 3, v2
	global_load_dwordx2 v[60:61], v2, s[4:5] offset:2832
	global_load_dwordx4 v[16:19], v2, s[4:5] offset:2816
	global_load_dwordx2 v[72:73], v[0:1], off offset:32
	global_load_dwordx4 v[96:99], v2, s[4:5] offset:2800
	v_mul_u32_u24_e32 v0, 5, v84
	v_lshlrev_b32_e32 v0, 3, v0
	global_load_dwordx2 v[28:29], v0, s[4:5] offset:2832
	global_load_dwordx4 v[8:11], v0, s[4:5] offset:2816
	global_load_dwordx4 v[12:15], v0, s[4:5] offset:2800
	ds_read2_b64 v[0:3], v100 offset1:60
	ds_read2_b64 v[108:111], v102 offset0:56 offset1:116
	ds_read2_b64 v[112:115], v106 offset0:160 offset1:220
	;; [unrolled: 1-line block ×3, first 2 shown]
	s_waitcnt vmcnt(17) lgkmcnt(5)
	v_pk_mul_f32 v[24:25], v[4:5], v[20:21] op_sel:[0,1]
	s_nop 0
	v_pk_fma_f32 v[30:31], v[4:5], v[20:21], v[24:25] op_sel:[0,0,1] op_sel_hi:[1,0,0]
	v_pk_fma_f32 v[20:21], v[4:5], v[20:21], v[24:25] op_sel:[0,0,1] op_sel_hi:[1,0,0] neg_lo:[1,0,0] neg_hi:[1,0,0]
	s_waitcnt lgkmcnt(4)
	v_pk_mul_f32 v[4:5], v[6:7], v[44:45] op_sel:[0,1]
	v_mov_b32_e32 v31, v21
	v_pk_fma_f32 v[24:25], v[6:7], v[44:45], v[4:5] op_sel:[0,0,1] op_sel_hi:[1,1,0]
	v_pk_fma_f32 v[4:5], v[6:7], v[44:45], v[4:5] op_sel:[0,0,1] op_sel_hi:[1,0,0] neg_lo:[1,0,0] neg_hi:[1,0,0]
	v_mov_b32_e32 v20, v30
	v_mov_b32_e32 v25, v5
	s_waitcnt vmcnt(16) lgkmcnt(2)
	v_pk_mul_f32 v[4:5], v[108:109], v[32:33] op_sel:[0,1]
	s_nop 0
	v_pk_fma_f32 v[6:7], v[108:109], v[32:33], v[4:5] op_sel:[0,0,1] op_sel_hi:[1,1,0]
	v_pk_fma_f32 v[4:5], v[108:109], v[32:33], v[4:5] op_sel:[0,0,1] op_sel_hi:[1,0,0] neg_lo:[0,0,1] neg_hi:[0,0,1]
	s_nop 0
	v_mov_b32_e32 v4, v35
	v_mov_b32_e32 v7, v5
	s_waitcnt lgkmcnt(1)
	v_pk_mul_f32 v[4:5], v[112:113], v[4:5] op_sel_hi:[1,0]
	s_nop 0
	v_pk_fma_f32 v[32:33], v[112:113], v[34:35], v[4:5] op_sel:[0,0,1] op_sel_hi:[1,1,0]
	v_pk_fma_f32 v[4:5], v[112:113], v[34:35], v[4:5] op_sel:[0,0,1] op_sel_hi:[1,0,0] neg_lo:[0,0,1] neg_hi:[0,0,1]
	s_nop 0
	v_mov_b32_e32 v33, v5
	s_waitcnt vmcnt(15) lgkmcnt(0)
	v_pk_mul_f32 v[4:5], v[116:117], v[26:27] op_sel:[0,1]
	s_nop 0
	v_pk_fma_f32 v[34:35], v[116:117], v[26:27], v[4:5] op_sel:[0,0,1] op_sel_hi:[1,1,0]
	v_pk_fma_f32 v[4:5], v[116:117], v[26:27], v[4:5] op_sel:[0,0,1] op_sel_hi:[1,0,0] neg_lo:[0,0,1] neg_hi:[0,0,1]
	s_nop 0
	v_mov_b32_e32 v35, v5
	v_pk_add_f32 v[4:5], v[0:1], v[24:25]
	v_pk_add_f32 v[58:59], v[6:7], v[34:35] neg_lo:[0,1] neg_hi:[0,1]
	v_pk_add_f32 v[26:27], v[4:5], v[32:33]
	v_pk_add_f32 v[4:5], v[6:7], v[34:35]
	;; [unrolled: 1-line block ×3, first 2 shown]
	v_fmac_f32_e32 v20, -0.5, v4
	v_fmac_f32_e32 v21, -0.5, v5
	s_waitcnt vmcnt(14)
	v_pk_mul_f32 v[4:5], v[22:23], v[38:39] op_sel:[0,1]
	v_pk_add_f32 v[30:31], v[6:7], v[34:35]
	v_pk_fma_f32 v[6:7], v[22:23], v[38:39], v[4:5] op_sel:[0,0,1] op_sel_hi:[1,0,0]
	v_pk_fma_f32 v[22:23], v[22:23], v[38:39], v[4:5] op_sel:[0,0,1] op_sel_hi:[1,0,0] neg_lo:[0,0,1] neg_hi:[0,0,1]
	v_mov_b32_e32 v4, v41
	v_pk_mul_f32 v[4:5], v[46:47], v[4:5] op_sel_hi:[1,0]
	v_fmamk_f32 v36, v59, 0xbf5db3d7, v20
	v_pk_fma_f32 v[38:39], v[46:47], v[40:41], v[4:5] op_sel:[0,0,1] op_sel_hi:[1,1,0]
	v_pk_fma_f32 v[4:5], v[46:47], v[40:41], v[4:5] op_sel:[0,0,1] op_sel_hi:[1,0,0] neg_lo:[0,0,1] neg_hi:[0,0,1]
	v_fmac_f32_e32 v20, 0x3f5db3d7, v59
	v_mov_b32_e32 v39, v5
	s_waitcnt vmcnt(13)
	v_pk_mul_f32 v[4:5], v[110:111], v[48:49] op_sel:[0,1]
	v_fmamk_f32 v44, v58, 0x3f5db3d7, v21
	v_pk_fma_f32 v[46:47], v[110:111], v[48:49], v[4:5] op_sel:[0,0,1] op_sel_hi:[1,1,0]
	v_pk_fma_f32 v[4:5], v[110:111], v[48:49], v[4:5] op_sel:[0,0,1] op_sel_hi:[1,0,0] neg_lo:[0,0,1] neg_hi:[0,0,1]
	v_fmac_f32_e32 v21, 0xbf5db3d7, v58
	v_mov_b32_e32 v4, v51
	v_mov_b32_e32 v47, v5
	v_pk_mul_f32 v[4:5], v[114:115], v[4:5] op_sel_hi:[1,0]
	v_mov_b32_e32 v7, v23
	v_pk_fma_f32 v[48:49], v[114:115], v[50:51], v[4:5] op_sel:[0,0,1] op_sel_hi:[1,1,0]
	v_pk_fma_f32 v[4:5], v[114:115], v[50:51], v[4:5] op_sel:[0,0,1] op_sel_hi:[1,0,0] neg_lo:[0,0,1] neg_hi:[0,0,1]
	v_mov_b32_e32 v22, v6
	v_mov_b32_e32 v49, v5
	s_waitcnt vmcnt(12)
	v_pk_mul_f32 v[4:5], v[118:119], v[42:43] op_sel:[0,1]
	v_pk_add_f32 v[6:7], v[6:7], v[46:47]
	v_pk_fma_f32 v[58:59], v[118:119], v[42:43], v[4:5] op_sel:[0,0,1] op_sel_hi:[1,1,0]
	v_pk_fma_f32 v[4:5], v[118:119], v[42:43], v[4:5] op_sel:[0,0,1] op_sel_hi:[1,0,0] neg_lo:[0,0,1] neg_hi:[0,0,1]
	v_pk_mul_f32 v[44:45], v[44:45], s[6:7] op_sel_hi:[0,1]
	v_mov_b32_e32 v59, v5
	v_pk_add_f32 v[4:5], v[2:3], v[38:39]
	v_pk_add_f32 v[42:43], v[46:47], v[58:59] neg_lo:[0,1] neg_hi:[0,1]
	v_pk_add_f32 v[40:41], v[4:5], v[48:49]
	v_pk_add_f32 v[4:5], v[46:47], v[58:59]
	;; [unrolled: 1-line block ×3, first 2 shown]
	v_fmac_f32_e32 v22, -0.5, v4
	v_fmac_f32_e32 v23, -0.5, v5
	ds_read2_b64 v[4:7], v100 offset0:120 offset1:180
	ds_read2_b64 v[108:111], v71 offset0:96 offset1:156
	ds_read2_b64 v[112:115], v101 offset0:72 offset1:132
	ds_read2_b64 v[116:119], v102 offset0:176 offset1:236
	ds_read2_b64 v[120:123], v103 offset0:24 offset1:84
	ds_read2_b64 v[124:127], v104 offset0:128 offset1:188
	v_fmamk_f32 v50, v43, 0xbf5db3d7, v22
	v_fmac_f32_e32 v22, 0x3f5db3d7, v43
	v_fmamk_f32 v58, v42, 0x3f5db3d7, v23
	v_fmac_f32_e32 v23, 0xbf5db3d7, v42
	s_waitcnt vmcnt(11) lgkmcnt(4)
	v_pk_mul_f32 v[42:43], v[108:109], v[54:55] op_sel:[0,1]
	v_pk_add_f32 v[34:35], v[26:27], v[30:31]
	v_pk_fma_f32 v[62:63], v[108:109], v[54:55], v[42:43] op_sel:[0,0,1] op_sel_hi:[1,0,0]
	v_pk_fma_f32 v[42:43], v[108:109], v[54:55], v[42:43] op_sel:[0,0,1] op_sel_hi:[1,0,0] neg_lo:[0,0,1] neg_hi:[0,0,1]
	v_pk_add_f32 v[68:69], v[40:41], v[46:47]
	v_mov_b32_e32 v42, v57
	s_waitcnt lgkmcnt(3)
	v_pk_mul_f32 v[78:79], v[112:113], v[42:43] op_sel_hi:[1,0]
	s_waitcnt vmcnt(9)
	v_mov_b32_e32 v42, v67
	v_pk_fma_f32 v[54:55], v[112:113], v[56:57], v[78:79] op_sel:[0,0,1] op_sel_hi:[1,1,0]
	v_pk_fma_f32 v[56:57], v[112:113], v[56:57], v[78:79] op_sel:[0,0,1] op_sel_hi:[1,0,0] neg_lo:[0,0,1] neg_hi:[0,0,1]
	v_mov_b32_e32 v63, v43
	v_mov_b32_e32 v55, v57
	s_waitcnt lgkmcnt(2)
	v_pk_mul_f32 v[56:57], v[116:117], v[64:65] op_sel:[0,1]
	v_pk_add_f32 v[26:27], v[26:27], v[30:31] neg_lo:[0,1] neg_hi:[0,1]
	v_pk_fma_f32 v[78:79], v[116:117], v[64:65], v[56:57] op_sel:[0,0,1] op_sel_hi:[1,1,0]
	v_pk_fma_f32 v[56:57], v[116:117], v[64:65], v[56:57] op_sel:[0,0,1] op_sel_hi:[1,0,0] neg_lo:[0,0,1] neg_hi:[0,0,1]
	s_nop 0
	v_mov_b32_e32 v79, v57
	s_waitcnt lgkmcnt(1)
	v_pk_mul_f32 v[56:57], v[120:121], v[42:43] op_sel_hi:[1,0]
	v_mov_b32_e32 v42, v62
	v_pk_fma_f32 v[64:65], v[120:121], v[66:67], v[56:57] op_sel:[0,0,1] op_sel_hi:[1,1,0]
	v_pk_fma_f32 v[56:57], v[120:121], v[66:67], v[56:57] op_sel:[0,0,1] op_sel_hi:[1,0,0] neg_lo:[0,0,1] neg_hi:[0,0,1]
	v_pk_add_f32 v[62:63], v[62:63], v[78:79]
	v_mov_b32_e32 v65, v57
	s_waitcnt lgkmcnt(0)
	v_pk_mul_f32 v[56:57], v[124:125], v[52:53] op_sel:[0,1]
	s_nop 0
	v_pk_fma_f32 v[66:67], v[124:125], v[52:53], v[56:57] op_sel:[0,0,1] op_sel_hi:[1,1,0]
	v_pk_fma_f32 v[52:53], v[124:125], v[52:53], v[56:57] op_sel:[0,0,1] op_sel_hi:[1,0,0] neg_lo:[0,0,1] neg_hi:[0,0,1]
	s_nop 0
	v_mov_b32_e32 v67, v53
	v_pk_add_f32 v[52:53], v[4:5], v[54:55]
	v_pk_add_f32 v[86:87], v[78:79], v[66:67] neg_lo:[0,1] neg_hi:[0,1]
	v_pk_add_f32 v[56:57], v[52:53], v[64:65]
	v_pk_add_f32 v[52:53], v[78:79], v[66:67]
	;; [unrolled: 1-line block ×3, first 2 shown]
	v_fmac_f32_e32 v42, -0.5, v52
	v_fmac_f32_e32 v43, -0.5, v53
	s_waitcnt vmcnt(8)
	v_pk_mul_f32 v[52:53], v[110:111], v[88:89] op_sel:[0,1]
	v_fmamk_f32 v70, v87, 0xbf5db3d7, v42
	v_pk_fma_f32 v[78:79], v[110:111], v[88:89], v[52:53] op_sel:[0,0,1] op_sel_hi:[1,0,0]
	v_pk_fma_f32 v[52:53], v[110:111], v[88:89], v[52:53] op_sel:[0,0,1] op_sel_hi:[1,0,0] neg_lo:[0,0,1] neg_hi:[0,0,1]
	v_fmac_f32_e32 v42, 0x3f5db3d7, v87
	v_mov_b32_e32 v52, v91
	v_fmamk_f32 v74, v86, 0x3f5db3d7, v43
	v_fmac_f32_e32 v43, 0xbf5db3d7, v86
	v_pk_mul_f32 v[86:87], v[114:115], v[52:53] op_sel_hi:[1,0]
	s_waitcnt vmcnt(7)
	v_mov_b32_e32 v52, v95
	v_pk_fma_f32 v[120:121], v[114:115], v[90:91], v[86:87] op_sel:[0,0,1] op_sel_hi:[1,1,0]
	v_pk_fma_f32 v[86:87], v[114:115], v[90:91], v[86:87] op_sel:[0,0,1] op_sel_hi:[1,0,0] neg_lo:[0,0,1] neg_hi:[0,0,1]
	v_mov_b32_e32 v79, v53
	v_mov_b32_e32 v121, v87
	v_pk_mul_f32 v[86:87], v[118:119], v[92:93] op_sel:[0,1]
	v_pk_add_f32 v[66:67], v[56:57], v[62:63]
	v_pk_fma_f32 v[88:89], v[118:119], v[92:93], v[86:87] op_sel:[0,0,1] op_sel_hi:[1,1,0]
	v_pk_fma_f32 v[86:87], v[118:119], v[92:93], v[86:87] op_sel:[0,0,1] op_sel_hi:[1,0,0] neg_lo:[0,0,1] neg_hi:[0,0,1]
	s_nop 0
	v_mov_b32_e32 v89, v87
	v_pk_mul_f32 v[86:87], v[122:123], v[52:53] op_sel_hi:[1,0]
	v_mov_b32_e32 v52, v78
	v_pk_fma_f32 v[124:125], v[122:123], v[94:95], v[86:87] op_sel:[0,0,1] op_sel_hi:[1,1,0]
	v_pk_fma_f32 v[86:87], v[122:123], v[94:95], v[86:87] op_sel:[0,0,1] op_sel_hi:[1,0,0] neg_lo:[0,0,1] neg_hi:[0,0,1]
	v_pk_add_f32 v[78:79], v[78:79], v[88:89]
	v_mov_b32_e32 v125, v87
	s_waitcnt vmcnt(4)
	v_pk_mul_f32 v[86:87], v[126:127], v[72:73] op_sel:[0,1]
	s_nop 0
	v_pk_fma_f32 v[90:91], v[126:127], v[72:73], v[86:87] op_sel:[0,0,1] op_sel_hi:[1,1,0]
	v_pk_fma_f32 v[72:73], v[126:127], v[72:73], v[86:87] op_sel:[0,0,1] op_sel_hi:[1,0,0] neg_lo:[0,0,1] neg_hi:[0,0,1]
	s_nop 0
	v_mov_b32_e32 v91, v73
	v_pk_add_f32 v[72:73], v[6:7], v[120:121]
	v_pk_add_f32 v[86:87], v[88:89], v[90:91] neg_lo:[0,1] neg_hi:[0,1]
	v_pk_add_f32 v[94:95], v[72:73], v[124:125]
	v_pk_add_f32 v[72:73], v[88:89], v[90:91]
	;; [unrolled: 1-line block ×3, first 2 shown]
	v_fmac_f32_e32 v52, -0.5, v72
	v_fmac_f32_e32 v53, -0.5, v73
	v_fmamk_f32 v84, v87, 0xbf5db3d7, v52
	v_fmac_f32_e32 v52, 0x3f5db3d7, v87
	v_fmamk_f32 v122, v86, 0x3f5db3d7, v53
	v_fmac_f32_e32 v53, 0xbf5db3d7, v86
	ds_read2_b64 v[86:89], v107 offset0:88 offset1:148
	ds_read2_b64 v[90:93], v101 offset0:192 offset1:252
	;; [unrolled: 1-line block ×5, first 2 shown]
	s_waitcnt vmcnt(3) lgkmcnt(4)
	v_pk_mul_f32 v[72:73], v[86:87], v[96:97] op_sel:[0,1]
	v_pk_add_f32 v[126:127], v[94:95], v[78:79]
	v_pk_fma_f32 v[128:129], v[86:87], v[96:97], v[72:73] op_sel:[0,0,1] op_sel_hi:[1,0,0]
	v_pk_fma_f32 v[72:73], v[86:87], v[96:97], v[72:73] op_sel:[0,0,1] op_sel_hi:[1,0,0] neg_lo:[0,0,1] neg_hi:[0,0,1]
	s_nop 0
	v_mov_b32_e32 v72, v99
	s_waitcnt lgkmcnt(3)
	v_pk_mul_f32 v[86:87], v[90:91], v[72:73] op_sel_hi:[1,0]
	v_mov_b32_e32 v129, v73
	v_pk_fma_f32 v[96:97], v[90:91], v[98:99], v[86:87] op_sel:[0,0,1] op_sel_hi:[1,1,0]
	v_pk_fma_f32 v[86:87], v[90:91], v[98:99], v[86:87] op_sel:[0,0,1] op_sel_hi:[1,0,0] neg_lo:[0,0,1] neg_hi:[0,0,1]
	v_mov_b32_e32 v72, v128
	v_mov_b32_e32 v97, v87
	s_waitcnt lgkmcnt(2)
	v_pk_mul_f32 v[86:87], v[108:109], v[16:17] op_sel:[0,1]
	s_nop 0
	v_pk_fma_f32 v[90:91], v[108:109], v[16:17], v[86:87] op_sel:[0,0,1] op_sel_hi:[1,1,0]
	v_pk_fma_f32 v[16:17], v[108:109], v[16:17], v[86:87] op_sel:[0,0,1] op_sel_hi:[1,0,0] neg_lo:[0,0,1] neg_hi:[0,0,1]
	s_nop 0
	v_mov_b32_e32 v16, v19
	v_mov_b32_e32 v91, v17
	s_waitcnt lgkmcnt(1)
	v_pk_mul_f32 v[16:17], v[112:113], v[16:17] op_sel_hi:[1,0]
	s_nop 0
	v_pk_fma_f32 v[86:87], v[112:113], v[18:19], v[16:17] op_sel:[0,0,1] op_sel_hi:[1,1,0]
	v_pk_fma_f32 v[16:17], v[112:113], v[18:19], v[16:17] op_sel:[0,0,1] op_sel_hi:[1,0,0] neg_lo:[0,0,1] neg_hi:[0,0,1]
	ds_read_b64 v[18:19], v81
	v_mov_b32_e32 v87, v17
	s_waitcnt lgkmcnt(1)
	v_pk_mul_f32 v[16:17], v[116:117], v[60:61] op_sel:[0,1]
	s_nop 0
	v_pk_fma_f32 v[98:99], v[116:117], v[60:61], v[16:17] op_sel:[0,0,1] op_sel_hi:[1,1,0]
	v_pk_fma_f32 v[16:17], v[116:117], v[60:61], v[16:17] op_sel:[0,0,1] op_sel_hi:[1,0,0] neg_lo:[0,0,1] neg_hi:[0,0,1]
	s_waitcnt vmcnt(0)
	v_pk_mul_f32 v[116:117], v[88:89], v[12:13] op_sel:[0,1]
	v_mov_b32_e32 v99, v17
	ds_read_b64 v[16:17], v85
	v_pk_add_f32 v[108:109], v[90:91], v[98:99]
	v_pk_add_f32 v[112:113], v[90:91], v[98:99] neg_lo:[0,1] neg_hi:[0,1]
	v_pk_add_f32 v[90:91], v[128:129], v[90:91]
	v_pk_fma_f32 v[128:129], v[88:89], v[12:13], v[116:117] op_sel:[0,0,1] op_sel_hi:[1,0,0]
	v_pk_fma_f32 v[12:13], v[88:89], v[12:13], v[116:117] op_sel:[0,0,1] op_sel_hi:[1,0,0] neg_lo:[0,0,1] neg_hi:[0,0,1]
	s_waitcnt lgkmcnt(0)
	v_mov_b32_e32 v12, v15
	v_pk_mul_f32 v[88:89], v[92:93], v[12:13] op_sel_hi:[1,0]
	; wave barrier
	s_nop 0
	v_pk_fma_f32 v[116:117], v[92:93], v[14:15], v[88:89] op_sel:[0,0,1] op_sel_hi:[1,1,0]
	v_pk_fma_f32 v[14:15], v[92:93], v[14:15], v[88:89] op_sel:[0,0,1] op_sel_hi:[1,0,0] neg_lo:[0,0,1] neg_hi:[0,0,1]
	ds_write2_b64 v100, v[34:35], v[68:69] offset1:60
	v_mov_b32_e32 v117, v15
	v_pk_mul_f32 v[14:15], v[110:111], v[8:9] op_sel:[0,1]
	v_pk_mul_f32 v[34:35], v[58:59], s[6:7] op_sel_hi:[0,1]
	v_pk_fma_f32 v[88:89], v[110:111], v[8:9], v[14:15] op_sel:[0,0,1] op_sel_hi:[1,1,0]
	v_pk_fma_f32 v[8:9], v[110:111], v[8:9], v[14:15] op_sel:[0,0,1] op_sel_hi:[1,0,0] neg_lo:[0,0,1] neg_hi:[0,0,1]
	v_pk_add_f32 v[110:111], v[24:25], v[32:33]
	v_pk_add_f32 v[24:25], v[24:25], v[32:33] neg_lo:[0,1] neg_hi:[0,1]
	v_pk_fma_f32 v[0:1], v[110:111], 0.5, v[0:1] op_sel_hi:[1,0,1] neg_lo:[1,0,0] neg_hi:[1,0,0]
	v_pk_mul_f32 v[24:25], v[24:25], s[6:7] op_sel_hi:[1,0]
	v_pk_fma_f32 v[110:111], v[36:37], s[8:9], v[44:45] neg_lo:[0,0,1] neg_hi:[0,0,1]
	v_pk_add_f32 v[32:33], v[0:1], v[24:25] op_sel:[0,1] op_sel_hi:[1,0] neg_lo:[0,1] neg_hi:[0,1]
	v_pk_add_f32 v[0:1], v[0:1], v[24:25] op_sel:[0,1] op_sel_hi:[1,0]
	v_mov_b32_e32 v24, v32
	v_mov_b32_e32 v32, v21
	v_pk_fma_f32 v[36:37], v[36:37], s[8:9], v[44:45] op_sel_hi:[0,1,1]
	v_pk_mul_f32 v[44:45], v[32:33], s[6:7] op_sel_hi:[0,1]
	v_mov_b32_e32 v25, v1
	v_pk_fma_f32 v[20:21], v[20:21], s[2:3], v[44:45] op_sel_hi:[0,1,1] neg_lo:[0,0,1] neg_hi:[0,0,1]
	v_mov_b32_e32 v1, v33
	v_pk_add_f32 v[32:33], v[0:1], v[20:21]
	v_pk_add_f32 v[0:1], v[0:1], v[20:21] neg_lo:[0,1] neg_hi:[0,1]
	v_pk_add_f32 v[20:21], v[38:39], v[48:49]
	v_mov_b32_e32 v111, v37
	v_pk_fma_f32 v[2:3], v[20:21], 0.5, v[2:3] op_sel_hi:[1,0,1] neg_lo:[1,0,0] neg_hi:[1,0,0]
	v_pk_add_f32 v[20:21], v[38:39], v[48:49] neg_lo:[0,1] neg_hi:[0,1]
	v_pk_fma_f32 v[38:39], v[50:51], s[8:9], v[34:35] neg_lo:[0,0,1] neg_hi:[0,0,1]
	v_pk_mul_f32 v[20:21], v[20:21], s[6:7] op_sel_hi:[1,0]
	v_pk_fma_f32 v[34:35], v[50:51], s[8:9], v[34:35] op_sel_hi:[0,1,1]
	v_pk_add_f32 v[30:31], v[2:3], v[20:21] op_sel:[0,1] op_sel_hi:[1,0] neg_lo:[0,1] neg_hi:[0,1]
	v_pk_add_f32 v[2:3], v[2:3], v[20:21] op_sel:[0,1] op_sel_hi:[1,0]
	v_mov_b32_e32 v20, v30
	v_mov_b32_e32 v21, v3
	;; [unrolled: 1-line block ×3, first 2 shown]
	v_pk_add_f32 v[36:37], v[24:25], v[110:111]
	v_pk_add_f32 v[34:35], v[20:21], v[38:39]
	v_mov_b32_e32 v30, v23
	ds_write2_b64 v105, v[36:37], v[34:35] offset0:104 offset1:164
	v_pk_mul_f32 v[34:35], v[30:31], s[6:7] op_sel_hi:[0,1]
	v_pk_fma_f32 v[22:23], v[22:23], s[2:3], v[34:35] op_sel_hi:[0,1,1] neg_lo:[0,0,1] neg_hi:[0,0,1]
	v_mov_b32_e32 v3, v31
	v_pk_add_f32 v[30:31], v[2:3], v[22:23]
	v_pk_add_f32 v[2:3], v[2:3], v[22:23] neg_lo:[0,1] neg_hi:[0,1]
	v_pk_add_f32 v[24:25], v[24:25], v[110:111] neg_lo:[0,1] neg_hi:[0,1]
	;; [unrolled: 1-line block ×3, first 2 shown]
	ds_write2_b64 v104, v[0:1], v[2:3] offset0:8 offset1:68
	v_pk_add_f32 v[0:1], v[54:55], v[64:65]
	v_pk_add_f32 v[2:3], v[54:55], v[64:65] neg_lo:[0,1] neg_hi:[0,1]
	ds_write2_b64 v106, v[24:25], v[20:21] offset0:160 offset1:220
	v_pk_fma_f32 v[0:1], v[0:1], 0.5, v[4:5] op_sel_hi:[1,0,1] neg_lo:[1,0,0] neg_hi:[1,0,0]
	v_pk_mul_f32 v[2:3], v[2:3], s[6:7] op_sel_hi:[1,0]
	v_pk_mul_f32 v[20:21], v[74:75], s[6:7] op_sel_hi:[0,1]
	v_pk_add_f32 v[4:5], v[0:1], v[2:3] op_sel:[0,1] op_sel_hi:[1,0] neg_lo:[0,1] neg_hi:[0,1]
	v_pk_add_f32 v[0:1], v[0:1], v[2:3] op_sel:[0,1] op_sel_hi:[1,0]
	v_pk_fma_f32 v[22:23], v[70:71], s[8:9], v[20:21] neg_lo:[0,0,1] neg_hi:[0,0,1]
	v_pk_fma_f32 v[20:21], v[70:71], s[8:9], v[20:21] op_sel_hi:[0,1,1]
	v_mov_b32_e32 v2, v4
	v_mov_b32_e32 v3, v1
	;; [unrolled: 1-line block ×3, first 2 shown]
	v_pk_add_f32 v[20:21], v[2:3], v[22:23]
	v_mov_b32_e32 v4, v43
	v_pk_add_f32 v[2:3], v[2:3], v[22:23] neg_lo:[0,1] neg_hi:[0,1]
	v_pk_add_f32 v[22:23], v[120:121], v[124:125]
	ds_write2_b64 v76, v[32:33], v[30:31] offset0:80 offset1:140
	v_pk_add_f32 v[30:31], v[40:41], v[46:47] neg_lo:[0,1] neg_hi:[0,1]
	v_pk_mul_f32 v[24:25], v[4:5], s[6:7] op_sel_hi:[0,1]
	v_pk_fma_f32 v[6:7], v[22:23], 0.5, v[6:7] op_sel_hi:[1,0,1] neg_lo:[1,0,0] neg_hi:[1,0,0]
	v_pk_add_f32 v[22:23], v[120:121], v[124:125] neg_lo:[0,1] neg_hi:[0,1]
	ds_write2_b64 v102, v[26:27], v[30:31] offset0:56 offset1:116
	v_pk_fma_f32 v[24:25], v[42:43], s[2:3], v[24:25] op_sel_hi:[0,1,1] neg_lo:[0,0,1] neg_hi:[0,0,1]
	v_mov_b32_e32 v1, v5
	v_pk_mul_f32 v[22:23], v[22:23], s[6:7] op_sel_hi:[1,0]
	v_pk_mul_f32 v[30:31], v[122:123], s[6:7] op_sel_hi:[0,1]
	v_pk_add_f32 v[4:5], v[0:1], v[24:25]
	v_pk_add_f32 v[0:1], v[0:1], v[24:25] neg_lo:[0,1] neg_hi:[0,1]
	v_pk_add_f32 v[24:25], v[6:7], v[22:23] op_sel:[0,1] op_sel_hi:[1,0] neg_lo:[0,1] neg_hi:[0,1]
	v_pk_add_f32 v[6:7], v[6:7], v[22:23] op_sel:[0,1] op_sel_hi:[1,0]
	v_pk_fma_f32 v[32:33], v[84:85], s[8:9], v[30:31] neg_lo:[0,0,1] neg_hi:[0,0,1]
	v_pk_fma_f32 v[30:31], v[84:85], s[8:9], v[30:31] op_sel_hi:[0,1,1]
	v_mov_b32_e32 v22, v24
	v_mov_b32_e32 v23, v7
	;; [unrolled: 1-line block ×3, first 2 shown]
	v_pk_add_f32 v[30:31], v[22:23], v[32:33]
	ds_write2_b64 v71, v[20:21], v[30:31] offset0:96 offset1:156
	v_mov_b32_e32 v20, v53
	v_pk_mul_f32 v[20:21], v[20:21], s[6:7] op_sel_hi:[0,1]
	v_pk_fma_f32 v[20:21], v[52:53], s[2:3], v[20:21] op_sel_hi:[0,1,1] neg_lo:[0,0,1] neg_hi:[0,0,1]
	v_mov_b32_e32 v7, v25
	v_pk_add_f32 v[24:25], v[6:7], v[20:21]
	v_pk_add_f32 v[26:27], v[56:57], v[62:63] neg_lo:[0,1] neg_hi:[0,1]
	ds_write2_b64 v101, v[4:5], v[24:25] offset0:72 offset1:132
	v_pk_add_f32 v[4:5], v[94:95], v[78:79] neg_lo:[0,1] neg_hi:[0,1]
	v_pk_add_f32 v[60:61], v[18:19], v[96:97]
	ds_write2_b64 v102, v[26:27], v[4:5] offset0:176 offset1:236
	v_pk_add_f32 v[4:5], v[22:23], v[32:33] neg_lo:[0,1] neg_hi:[0,1]
	v_pk_add_f32 v[60:61], v[60:61], v[86:87]
	v_fmac_f32_e32 v72, -0.5, v108
	v_pk_add_f32 v[90:91], v[90:91], v[98:99]
	v_fmac_f32_e32 v73, -0.5, v109
	ds_write2_b64 v103, v[2:3], v[4:5] offset0:24 offset1:84
	v_pk_add_f32 v[2:3], v[6:7], v[20:21] neg_lo:[0,1] neg_hi:[0,1]
	v_fmamk_f32 v108, v113, 0xbf5db3d7, v72
	v_fmac_f32_e32 v72, 0x3f5db3d7, v113
	v_fmamk_f32 v98, v112, 0x3f5db3d7, v73
	v_fmac_f32_e32 v73, 0xbf5db3d7, v112
	v_pk_add_f32 v[112:113], v[60:61], v[90:91]
	ds_write2_b64 v100, v[66:67], v[126:127] offset0:120 offset1:180
	ds_write2_b64 v104, v[0:1], v[2:3] offset0:128 offset1:188
	ds_write_b64 v81, v[112:113]
	v_pk_add_f32 v[0:1], v[96:97], v[86:87]
	v_pk_add_f32 v[2:3], v[96:97], v[86:87] neg_lo:[0,1] neg_hi:[0,1]
	v_mov_b32_e32 v8, v11
	v_pk_fma_f32 v[0:1], v[0:1], 0.5, v[18:19] op_sel_hi:[1,0,1] neg_lo:[1,0,0] neg_hi:[1,0,0]
	v_pk_mul_f32 v[2:3], v[2:3], s[6:7] op_sel_hi:[1,0]
	v_pk_mul_f32 v[6:7], v[98:99], s[6:7] op_sel_hi:[0,1]
	v_mov_b32_e32 v89, v9
	v_pk_mul_f32 v[8:9], v[114:115], v[8:9] op_sel_hi:[1,0]
	v_pk_add_f32 v[4:5], v[0:1], v[2:3] op_sel:[0,1] op_sel_hi:[1,0] neg_lo:[0,1] neg_hi:[0,1]
	v_pk_add_f32 v[0:1], v[0:1], v[2:3] op_sel:[0,1] op_sel_hi:[1,0]
	v_pk_fma_f32 v[18:19], v[108:109], s[8:9], v[6:7] neg_lo:[0,0,1] neg_hi:[0,0,1]
	v_pk_fma_f32 v[6:7], v[108:109], s[8:9], v[6:7] op_sel_hi:[0,1,1]
	v_pk_fma_f32 v[14:15], v[114:115], v[10:11], v[8:9] op_sel:[0,0,1] op_sel_hi:[1,1,0]
	v_pk_fma_f32 v[8:9], v[114:115], v[10:11], v[8:9] op_sel:[0,0,1] op_sel_hi:[1,0,0] neg_lo:[0,0,1] neg_hi:[0,0,1]
	v_mov_b32_e32 v2, v4
	v_mov_b32_e32 v3, v1
	v_mov_b32_e32 v19, v7
	v_mov_b32_e32 v15, v9
	v_pk_mul_f32 v[8:9], v[118:119], v[28:29] op_sel:[0,1]
	v_pk_add_f32 v[6:7], v[2:3], v[18:19]
	v_mov_b32_e32 v4, v73
	v_pk_fma_f32 v[10:11], v[118:119], v[28:29], v[8:9] op_sel:[0,0,1] op_sel_hi:[1,1,0]
	v_pk_fma_f32 v[8:9], v[118:119], v[28:29], v[8:9] op_sel:[0,0,1] op_sel_hi:[1,0,0] neg_lo:[0,0,1] neg_hi:[0,0,1]
	ds_write_b64 v81, v[6:7] offset:2880
	v_pk_mul_f32 v[6:7], v[4:5], s[6:7] op_sel_hi:[0,1]
	v_mov_b32_e32 v129, v13
	v_mov_b32_e32 v11, v9
	v_pk_fma_f32 v[6:7], v[72:73], s[2:3], v[6:7] op_sel_hi:[0,1,1] neg_lo:[0,0,1] neg_hi:[0,0,1]
	v_mov_b32_e32 v1, v5
	v_pk_add_f32 v[8:9], v[16:17], v[116:117]
	v_pk_add_f32 v[28:29], v[88:89], v[10:11]
	v_mov_b32_e32 v12, v128
	v_pk_add_f32 v[92:93], v[88:89], v[10:11] neg_lo:[0,1] neg_hi:[0,1]
	v_pk_add_f32 v[88:89], v[128:129], v[88:89]
	v_pk_add_f32 v[4:5], v[0:1], v[6:7]
	;; [unrolled: 1-line block ×3, first 2 shown]
	v_fmac_f32_e32 v12, -0.5, v28
	v_pk_add_f32 v[10:11], v[88:89], v[10:11]
	v_fmac_f32_e32 v13, -0.5, v29
	ds_write_b64 v81, v[4:5] offset:5760
	v_pk_add_f32 v[4:5], v[60:61], v[90:91] neg_lo:[0,1] neg_hi:[0,1]
	v_pk_add_f32 v[2:3], v[2:3], v[18:19] neg_lo:[0,1] neg_hi:[0,1]
	;; [unrolled: 1-line block ×3, first 2 shown]
	v_fmamk_f32 v28, v93, 0xbf5db3d7, v12
	v_fmac_f32_e32 v12, 0x3f5db3d7, v93
	v_fmamk_f32 v88, v92, 0x3f5db3d7, v13
	v_fmac_f32_e32 v13, 0xbf5db3d7, v92
	v_pk_add_f32 v[92:93], v[8:9], v[10:11]
	ds_write_b64 v81, v[4:5] offset:8640
	ds_write_b64 v81, v[2:3] offset:11520
	;; [unrolled: 1-line block ×3, first 2 shown]
	ds_write_b64 v85, v[92:93]
	v_pk_add_f32 v[0:1], v[116:117], v[14:15]
	v_pk_add_f32 v[2:3], v[116:117], v[14:15] neg_lo:[0,1] neg_hi:[0,1]
	v_pk_fma_f32 v[0:1], v[0:1], 0.5, v[16:17] op_sel_hi:[1,0,1] neg_lo:[1,0,0] neg_hi:[1,0,0]
	v_pk_mul_f32 v[2:3], v[2:3], s[6:7] op_sel_hi:[1,0]
	v_pk_mul_f32 v[6:7], v[88:89], s[6:7] op_sel_hi:[0,1]
	v_pk_add_f32 v[4:5], v[0:1], v[2:3] op_sel:[0,1] op_sel_hi:[1,0] neg_lo:[0,1] neg_hi:[0,1]
	v_pk_add_f32 v[0:1], v[0:1], v[2:3] op_sel:[0,1] op_sel_hi:[1,0]
	v_pk_fma_f32 v[14:15], v[28:29], s[8:9], v[6:7] neg_lo:[0,0,1] neg_hi:[0,0,1]
	v_pk_fma_f32 v[6:7], v[28:29], s[8:9], v[6:7] op_sel_hi:[0,1,1]
	v_mov_b32_e32 v2, v4
	v_mov_b32_e32 v3, v1
	;; [unrolled: 1-line block ×3, first 2 shown]
	v_pk_add_f32 v[6:7], v[2:3], v[14:15]
	v_mov_b32_e32 v4, v13
	ds_write_b64 v85, v[6:7] offset:2880
	v_pk_mul_f32 v[6:7], v[4:5], s[6:7] op_sel_hi:[0,1]
	v_pk_fma_f32 v[6:7], v[12:13], s[2:3], v[6:7] op_sel_hi:[0,1,1] neg_lo:[0,0,1] neg_hi:[0,0,1]
	v_mov_b32_e32 v1, v5
	v_pk_add_f32 v[4:5], v[0:1], v[6:7]
	ds_write_b64 v85, v[4:5] offset:5760
	v_pk_add_f32 v[4:5], v[8:9], v[10:11] neg_lo:[0,1] neg_hi:[0,1]
	v_pk_add_f32 v[2:3], v[2:3], v[14:15] neg_lo:[0,1] neg_hi:[0,1]
	v_pk_add_f32 v[0:1], v[0:1], v[6:7] neg_lo:[0,1] neg_hi:[0,1]
	ds_write_b64 v85, v[4:5] offset:8640
	ds_write_b64 v85, v[2:3] offset:11520
	;; [unrolled: 1-line block ×3, first 2 shown]
	s_waitcnt lgkmcnt(0)
	; wave barrier
	s_waitcnt lgkmcnt(0)
	s_and_saveexec_b64 s[2:3], s[0:1]
	s_cbranch_execz .LBB0_21
; %bb.20:
	v_lshl_add_u32 v8, v80, 3, 0
	ds_read2_b64 v[0:3], v8 offset1:60
	v_mov_b32_e32 v81, 0
	v_add_u32_e32 v4, 60, v80
	v_lshl_add_u64 v[6:7], v[80:81], 3, v[82:83]
	v_mov_b32_e32 v5, v81
	s_waitcnt lgkmcnt(0)
	global_store_dwordx2 v[6:7], v[0:1], off
	v_lshl_add_u64 v[0:1], v[4:5], 3, v[82:83]
	ds_read2_b64 v[4:7], v8 offset0:120 offset1:180
	global_store_dwordx2 v[0:1], v[2:3], off
	v_add_u32_e32 v0, 0x78, v80
	v_mov_b32_e32 v1, v81
	v_lshl_add_u64 v[0:1], v[0:1], 3, v[82:83]
	s_waitcnt lgkmcnt(0)
	global_store_dwordx2 v[0:1], v[4:5], off
	v_add_u32_e32 v0, 0xb4, v80
	v_mov_b32_e32 v1, v81
	v_lshl_add_u64 v[4:5], v[0:1], 3, v[82:83]
	v_add_u32_e32 v0, 0x400, v8
	ds_read2_b64 v[0:3], v0 offset0:112 offset1:172
	global_store_dwordx2 v[4:5], v[6:7], off
	v_add_u32_e32 v4, 0xf0, v80
	v_mov_b32_e32 v5, v81
	v_lshl_add_u64 v[4:5], v[4:5], 3, v[82:83]
	s_waitcnt lgkmcnt(0)
	global_store_dwordx2 v[4:5], v[0:1], off
	v_add_u32_e32 v4, 0x800, v8
	ds_read2_b64 v[4:7], v4 offset0:104 offset1:164
	v_add_u32_e32 v0, 0x12c, v80
	v_mov_b32_e32 v1, v81
	v_lshl_add_u64 v[0:1], v[0:1], 3, v[82:83]
	global_store_dwordx2 v[0:1], v[2:3], off
	v_add_u32_e32 v0, 0x168, v80
	v_mov_b32_e32 v1, v81
	v_lshl_add_u64 v[0:1], v[0:1], 3, v[82:83]
	s_waitcnt lgkmcnt(0)
	global_store_dwordx2 v[0:1], v[4:5], off
	v_add_u32_e32 v0, 0x1a4, v80
	v_mov_b32_e32 v1, v81
	v_lshl_add_u64 v[4:5], v[0:1], 3, v[82:83]
	v_add_u32_e32 v0, 0xc00, v8
	ds_read2_b64 v[0:3], v0 offset0:96 offset1:156
	global_store_dwordx2 v[4:5], v[6:7], off
	v_add_u32_e32 v4, 0x1e0, v80
	v_mov_b32_e32 v5, v81
	v_lshl_add_u64 v[4:5], v[4:5], 3, v[82:83]
	s_waitcnt lgkmcnt(0)
	global_store_dwordx2 v[4:5], v[0:1], off
	v_add_u32_e32 v4, 0x1000, v8
	ds_read2_b64 v[4:7], v4 offset0:88 offset1:148
	v_add_u32_e32 v0, 0x21c, v80
	v_mov_b32_e32 v1, v81
	v_lshl_add_u64 v[0:1], v[0:1], 3, v[82:83]
	global_store_dwordx2 v[0:1], v[2:3], off
	v_add_u32_e32 v0, 0x258, v80
	v_mov_b32_e32 v1, v81
	v_lshl_add_u64 v[0:1], v[0:1], 3, v[82:83]
	s_waitcnt lgkmcnt(0)
	global_store_dwordx2 v[0:1], v[4:5], off
	v_add_u32_e32 v0, 0x294, v80
	v_mov_b32_e32 v1, v81
	v_lshl_add_u64 v[4:5], v[0:1], 3, v[82:83]
	v_add_u32_e32 v0, 0x1400, v8
	ds_read2_b64 v[0:3], v0 offset0:80 offset1:140
	global_store_dwordx2 v[4:5], v[6:7], off
	v_add_u32_e32 v4, 0x2d0, v80
	v_mov_b32_e32 v5, v81
	v_lshl_add_u64 v[4:5], v[4:5], 3, v[82:83]
	v_add_u32_e32 v9, 0x1800, v8
	s_waitcnt lgkmcnt(0)
	global_store_dwordx2 v[4:5], v[0:1], off
	ds_read2_b64 v[4:7], v9 offset0:72 offset1:132
	v_add_u32_e32 v0, 0x30c, v80
	v_mov_b32_e32 v1, v81
	v_lshl_add_u64 v[0:1], v[0:1], 3, v[82:83]
	global_store_dwordx2 v[0:1], v[2:3], off
	v_add_u32_e32 v0, 0x348, v80
	v_mov_b32_e32 v1, v81
	v_lshl_add_u64 v[0:1], v[0:1], 3, v[82:83]
	s_waitcnt lgkmcnt(0)
	global_store_dwordx2 v[0:1], v[4:5], off
	v_add_u32_e32 v0, 0x384, v80
	v_mov_b32_e32 v1, v81
	v_lshl_add_u64 v[4:5], v[0:1], 3, v[82:83]
	ds_read2_b64 v[0:3], v9 offset0:192 offset1:252
	global_store_dwordx2 v[4:5], v[6:7], off
	v_add_u32_e32 v4, 0x3c0, v80
	v_mov_b32_e32 v5, v81
	v_lshl_add_u64 v[4:5], v[4:5], 3, v[82:83]
	v_add_u32_e32 v9, 0x2000, v8
	s_waitcnt lgkmcnt(0)
	global_store_dwordx2 v[4:5], v[0:1], off
	ds_read2_b64 v[4:7], v9 offset0:56 offset1:116
	v_add_u32_e32 v0, 0x3fc, v80
	v_mov_b32_e32 v1, v81
	v_lshl_add_u64 v[0:1], v[0:1], 3, v[82:83]
	global_store_dwordx2 v[0:1], v[2:3], off
	v_add_u32_e32 v0, 0x438, v80
	v_mov_b32_e32 v1, v81
	v_lshl_add_u64 v[0:1], v[0:1], 3, v[82:83]
	s_waitcnt lgkmcnt(0)
	global_store_dwordx2 v[0:1], v[4:5], off
	v_add_u32_e32 v0, 0x474, v80
	v_mov_b32_e32 v1, v81
	v_lshl_add_u64 v[4:5], v[0:1], 3, v[82:83]
	;; [unrolled: 21-line block ×5, first 2 shown]
	ds_read2_b64 v[0:3], v9 offset0:128 offset1:188
	global_store_dwordx2 v[4:5], v[6:7], off
	v_add_u32_e32 v4, 0x780, v80
	v_mov_b32_e32 v5, v81
	v_lshl_add_u64 v[4:5], v[4:5], 3, v[82:83]
	s_waitcnt lgkmcnt(0)
	global_store_dwordx2 v[4:5], v[0:1], off
	v_add_u32_e32 v4, 0x3c00, v8
	ds_read2_b64 v[4:7], v4 offset0:120 offset1:180
	v_add_u32_e32 v0, 0x7bc, v80
	v_mov_b32_e32 v1, v81
	v_lshl_add_u64 v[0:1], v[0:1], 3, v[82:83]
	global_store_dwordx2 v[0:1], v[2:3], off
	v_add_u32_e32 v0, 0x7f8, v80
	v_mov_b32_e32 v1, v81
	v_lshl_add_u64 v[0:1], v[0:1], 3, v[82:83]
	v_add_u32_e32 v80, 0x834, v80
	s_waitcnt lgkmcnt(0)
	global_store_dwordx2 v[0:1], v[4:5], off
	v_lshl_add_u64 v[0:1], v[80:81], 3, v[82:83]
	global_store_dwordx2 v[0:1], v[6:7], off
.LBB0_21:
	s_endpgm
	.section	.rodata,"a",@progbits
	.p2align	6, 0x0
	.amdhsa_kernel fft_rtc_back_len2160_factors_10_6_6_6_wgs_60_tpt_60_halfLds_sp_ip_CI_unitstride_sbrr_C2R_dirReg
		.amdhsa_group_segment_fixed_size 0
		.amdhsa_private_segment_fixed_size 0
		.amdhsa_kernarg_size 88
		.amdhsa_user_sgpr_count 2
		.amdhsa_user_sgpr_dispatch_ptr 0
		.amdhsa_user_sgpr_queue_ptr 0
		.amdhsa_user_sgpr_kernarg_segment_ptr 1
		.amdhsa_user_sgpr_dispatch_id 0
		.amdhsa_user_sgpr_kernarg_preload_length 0
		.amdhsa_user_sgpr_kernarg_preload_offset 0
		.amdhsa_user_sgpr_private_segment_size 0
		.amdhsa_uses_dynamic_stack 0
		.amdhsa_enable_private_segment 0
		.amdhsa_system_sgpr_workgroup_id_x 1
		.amdhsa_system_sgpr_workgroup_id_y 0
		.amdhsa_system_sgpr_workgroup_id_z 0
		.amdhsa_system_sgpr_workgroup_info 0
		.amdhsa_system_vgpr_workitem_id 0
		.amdhsa_next_free_vgpr 142
		.amdhsa_next_free_sgpr 24
		.amdhsa_accum_offset 144
		.amdhsa_reserve_vcc 1
		.amdhsa_float_round_mode_32 0
		.amdhsa_float_round_mode_16_64 0
		.amdhsa_float_denorm_mode_32 3
		.amdhsa_float_denorm_mode_16_64 3
		.amdhsa_dx10_clamp 1
		.amdhsa_ieee_mode 1
		.amdhsa_fp16_overflow 0
		.amdhsa_tg_split 0
		.amdhsa_exception_fp_ieee_invalid_op 0
		.amdhsa_exception_fp_denorm_src 0
		.amdhsa_exception_fp_ieee_div_zero 0
		.amdhsa_exception_fp_ieee_overflow 0
		.amdhsa_exception_fp_ieee_underflow 0
		.amdhsa_exception_fp_ieee_inexact 0
		.amdhsa_exception_int_div_zero 0
	.end_amdhsa_kernel
	.text
.Lfunc_end0:
	.size	fft_rtc_back_len2160_factors_10_6_6_6_wgs_60_tpt_60_halfLds_sp_ip_CI_unitstride_sbrr_C2R_dirReg, .Lfunc_end0-fft_rtc_back_len2160_factors_10_6_6_6_wgs_60_tpt_60_halfLds_sp_ip_CI_unitstride_sbrr_C2R_dirReg
                                        ; -- End function
	.section	.AMDGPU.csdata,"",@progbits
; Kernel info:
; codeLenInByte = 19612
; NumSgprs: 30
; NumVgprs: 142
; NumAgprs: 0
; TotalNumVgprs: 142
; ScratchSize: 0
; MemoryBound: 0
; FloatMode: 240
; IeeeMode: 1
; LDSByteSize: 0 bytes/workgroup (compile time only)
; SGPRBlocks: 3
; VGPRBlocks: 17
; NumSGPRsForWavesPerEU: 30
; NumVGPRsForWavesPerEU: 142
; AccumOffset: 144
; Occupancy: 3
; WaveLimiterHint : 1
; COMPUTE_PGM_RSRC2:SCRATCH_EN: 0
; COMPUTE_PGM_RSRC2:USER_SGPR: 2
; COMPUTE_PGM_RSRC2:TRAP_HANDLER: 0
; COMPUTE_PGM_RSRC2:TGID_X_EN: 1
; COMPUTE_PGM_RSRC2:TGID_Y_EN: 0
; COMPUTE_PGM_RSRC2:TGID_Z_EN: 0
; COMPUTE_PGM_RSRC2:TIDIG_COMP_CNT: 0
; COMPUTE_PGM_RSRC3_GFX90A:ACCUM_OFFSET: 35
; COMPUTE_PGM_RSRC3_GFX90A:TG_SPLIT: 0
	.text
	.p2alignl 6, 3212836864
	.fill 256, 4, 3212836864
	.type	__hip_cuid_50a33020b322e37b,@object ; @__hip_cuid_50a33020b322e37b
	.section	.bss,"aw",@nobits
	.globl	__hip_cuid_50a33020b322e37b
__hip_cuid_50a33020b322e37b:
	.byte	0                               ; 0x0
	.size	__hip_cuid_50a33020b322e37b, 1

	.ident	"AMD clang version 19.0.0git (https://github.com/RadeonOpenCompute/llvm-project roc-6.4.0 25133 c7fe45cf4b819c5991fe208aaa96edf142730f1d)"
	.section	".note.GNU-stack","",@progbits
	.addrsig
	.addrsig_sym __hip_cuid_50a33020b322e37b
	.amdgpu_metadata
---
amdhsa.kernels:
  - .agpr_count:     0
    .args:
      - .actual_access:  read_only
        .address_space:  global
        .offset:         0
        .size:           8
        .value_kind:     global_buffer
      - .offset:         8
        .size:           8
        .value_kind:     by_value
      - .actual_access:  read_only
        .address_space:  global
        .offset:         16
        .size:           8
        .value_kind:     global_buffer
      - .actual_access:  read_only
        .address_space:  global
        .offset:         24
        .size:           8
        .value_kind:     global_buffer
      - .offset:         32
        .size:           8
        .value_kind:     by_value
      - .actual_access:  read_only
        .address_space:  global
        .offset:         40
        .size:           8
        .value_kind:     global_buffer
      - .actual_access:  read_only
        .address_space:  global
        .offset:         48
        .size:           8
        .value_kind:     global_buffer
      - .offset:         56
        .size:           4
        .value_kind:     by_value
      - .actual_access:  read_only
        .address_space:  global
        .offset:         64
        .size:           8
        .value_kind:     global_buffer
      - .actual_access:  read_only
        .address_space:  global
        .offset:         72
        .size:           8
        .value_kind:     global_buffer
      - .address_space:  global
        .offset:         80
        .size:           8
        .value_kind:     global_buffer
    .group_segment_fixed_size: 0
    .kernarg_segment_align: 8
    .kernarg_segment_size: 88
    .language:       OpenCL C
    .language_version:
      - 2
      - 0
    .max_flat_workgroup_size: 60
    .name:           fft_rtc_back_len2160_factors_10_6_6_6_wgs_60_tpt_60_halfLds_sp_ip_CI_unitstride_sbrr_C2R_dirReg
    .private_segment_fixed_size: 0
    .sgpr_count:     30
    .sgpr_spill_count: 0
    .symbol:         fft_rtc_back_len2160_factors_10_6_6_6_wgs_60_tpt_60_halfLds_sp_ip_CI_unitstride_sbrr_C2R_dirReg.kd
    .uniform_work_group_size: 1
    .uses_dynamic_stack: false
    .vgpr_count:     142
    .vgpr_spill_count: 0
    .wavefront_size: 64
amdhsa.target:   amdgcn-amd-amdhsa--gfx950
amdhsa.version:
  - 1
  - 2
...

	.end_amdgpu_metadata
